;; amdgpu-corpus repo=ROCm/rocFFT kind=compiled arch=gfx1030 opt=O3
	.text
	.amdgcn_target "amdgcn-amd-amdhsa--gfx1030"
	.amdhsa_code_object_version 6
	.protected	fft_rtc_back_len1512_factors_2_2_2_3_3_3_7_wgs_63_tpt_63_halfLds_dp_op_CI_CI_sbrr_dirReg ; -- Begin function fft_rtc_back_len1512_factors_2_2_2_3_3_3_7_wgs_63_tpt_63_halfLds_dp_op_CI_CI_sbrr_dirReg
	.globl	fft_rtc_back_len1512_factors_2_2_2_3_3_3_7_wgs_63_tpt_63_halfLds_dp_op_CI_CI_sbrr_dirReg
	.p2align	8
	.type	fft_rtc_back_len1512_factors_2_2_2_3_3_3_7_wgs_63_tpt_63_halfLds_dp_op_CI_CI_sbrr_dirReg,@function
fft_rtc_back_len1512_factors_2_2_2_3_3_3_7_wgs_63_tpt_63_halfLds_dp_op_CI_CI_sbrr_dirReg: ; @fft_rtc_back_len1512_factors_2_2_2_3_3_3_7_wgs_63_tpt_63_halfLds_dp_op_CI_CI_sbrr_dirReg
; %bb.0:
	s_clause 0x2
	s_load_dwordx4 s[16:19], s[4:5], 0x18
	s_load_dwordx4 s[8:11], s[4:5], 0x0
	;; [unrolled: 1-line block ×3, first 2 shown]
	v_mul_u32_u24_e32 v2, 0x411, v0
	v_mov_b32_e32 v1, 0
	v_mov_b32_e32 v4, 0
	;; [unrolled: 1-line block ×3, first 2 shown]
	s_waitcnt lgkmcnt(0)
	s_load_dwordx2 s[20:21], s[16:17], 0x0
	s_load_dwordx2 s[2:3], s[18:19], 0x0
	v_cmp_lt_u64_e64 s0, s[10:11], 2
	v_add_nc_u32_sdwa v6, s6, v2 dst_sel:DWORD dst_unused:UNUSED_PAD src0_sel:DWORD src1_sel:WORD_1
	v_mov_b32_e32 v7, v1
	s_and_b32 vcc_lo, exec_lo, s0
	s_cbranch_vccnz .LBB0_8
; %bb.1:
	s_load_dwordx2 s[0:1], s[4:5], 0x10
	v_mov_b32_e32 v4, 0
	v_mov_b32_e32 v5, 0
	s_add_u32 s6, s18, 8
	s_addc_u32 s7, s19, 0
	s_add_u32 s22, s16, 8
	s_addc_u32 s23, s17, 0
	v_mov_b32_e32 v169, v5
	v_mov_b32_e32 v168, v4
	s_mov_b64 s[26:27], 1
	s_waitcnt lgkmcnt(0)
	s_add_u32 s24, s0, 8
	s_addc_u32 s25, s1, 0
.LBB0_2:                                ; =>This Inner Loop Header: Depth=1
	s_load_dwordx2 s[28:29], s[24:25], 0x0
                                        ; implicit-def: $vgpr170_vgpr171
	s_mov_b32 s0, exec_lo
	s_waitcnt lgkmcnt(0)
	v_or_b32_e32 v2, s29, v7
	v_cmpx_ne_u64_e32 0, v[1:2]
	s_xor_b32 s1, exec_lo, s0
	s_cbranch_execz .LBB0_4
; %bb.3:                                ;   in Loop: Header=BB0_2 Depth=1
	v_cvt_f32_u32_e32 v2, s28
	v_cvt_f32_u32_e32 v3, s29
	s_sub_u32 s0, 0, s28
	s_subb_u32 s30, 0, s29
	v_fmac_f32_e32 v2, 0x4f800000, v3
	v_rcp_f32_e32 v2, v2
	v_mul_f32_e32 v2, 0x5f7ffffc, v2
	v_mul_f32_e32 v3, 0x2f800000, v2
	v_trunc_f32_e32 v3, v3
	v_fmac_f32_e32 v2, 0xcf800000, v3
	v_cvt_u32_f32_e32 v3, v3
	v_cvt_u32_f32_e32 v2, v2
	v_mul_lo_u32 v8, s0, v3
	v_mul_hi_u32 v9, s0, v2
	v_mul_lo_u32 v10, s30, v2
	v_add_nc_u32_e32 v8, v9, v8
	v_mul_lo_u32 v9, s0, v2
	v_add_nc_u32_e32 v8, v8, v10
	v_mul_hi_u32 v10, v2, v9
	v_mul_lo_u32 v11, v2, v8
	v_mul_hi_u32 v12, v2, v8
	v_mul_hi_u32 v13, v3, v9
	v_mul_lo_u32 v9, v3, v9
	v_mul_hi_u32 v14, v3, v8
	v_mul_lo_u32 v8, v3, v8
	v_add_co_u32 v10, vcc_lo, v10, v11
	v_add_co_ci_u32_e32 v11, vcc_lo, 0, v12, vcc_lo
	v_add_co_u32 v9, vcc_lo, v10, v9
	v_add_co_ci_u32_e32 v9, vcc_lo, v11, v13, vcc_lo
	v_add_co_ci_u32_e32 v10, vcc_lo, 0, v14, vcc_lo
	v_add_co_u32 v8, vcc_lo, v9, v8
	v_add_co_ci_u32_e32 v9, vcc_lo, 0, v10, vcc_lo
	v_add_co_u32 v2, vcc_lo, v2, v8
	v_add_co_ci_u32_e32 v3, vcc_lo, v3, v9, vcc_lo
	v_mul_hi_u32 v8, s0, v2
	v_mul_lo_u32 v10, s30, v2
	v_mul_lo_u32 v9, s0, v3
	v_add_nc_u32_e32 v8, v8, v9
	v_mul_lo_u32 v9, s0, v2
	v_add_nc_u32_e32 v8, v8, v10
	v_mul_hi_u32 v10, v2, v9
	v_mul_lo_u32 v11, v2, v8
	v_mul_hi_u32 v12, v2, v8
	v_mul_hi_u32 v13, v3, v9
	v_mul_lo_u32 v9, v3, v9
	v_mul_hi_u32 v14, v3, v8
	v_mul_lo_u32 v8, v3, v8
	v_add_co_u32 v10, vcc_lo, v10, v11
	v_add_co_ci_u32_e32 v11, vcc_lo, 0, v12, vcc_lo
	v_add_co_u32 v9, vcc_lo, v10, v9
	v_add_co_ci_u32_e32 v9, vcc_lo, v11, v13, vcc_lo
	v_add_co_ci_u32_e32 v10, vcc_lo, 0, v14, vcc_lo
	v_add_co_u32 v8, vcc_lo, v9, v8
	v_add_co_ci_u32_e32 v9, vcc_lo, 0, v10, vcc_lo
	v_add_co_u32 v8, vcc_lo, v2, v8
	v_add_co_ci_u32_e32 v10, vcc_lo, v3, v9, vcc_lo
	v_mul_hi_u32 v12, v6, v8
	v_mad_u64_u32 v[8:9], null, v7, v8, 0
	v_mad_u64_u32 v[2:3], null, v6, v10, 0
	v_mad_u64_u32 v[10:11], null, v7, v10, 0
	v_add_co_u32 v2, vcc_lo, v12, v2
	v_add_co_ci_u32_e32 v3, vcc_lo, 0, v3, vcc_lo
	v_add_co_u32 v2, vcc_lo, v2, v8
	v_add_co_ci_u32_e32 v2, vcc_lo, v3, v9, vcc_lo
	v_add_co_ci_u32_e32 v3, vcc_lo, 0, v11, vcc_lo
	v_add_co_u32 v8, vcc_lo, v2, v10
	v_add_co_ci_u32_e32 v9, vcc_lo, 0, v3, vcc_lo
	v_mul_lo_u32 v10, s29, v8
	v_mad_u64_u32 v[2:3], null, s28, v8, 0
	v_mul_lo_u32 v11, s28, v9
	v_sub_co_u32 v2, vcc_lo, v6, v2
	v_add3_u32 v3, v3, v11, v10
	v_sub_nc_u32_e32 v10, v7, v3
	v_subrev_co_ci_u32_e64 v10, s0, s29, v10, vcc_lo
	v_add_co_u32 v11, s0, v8, 2
	v_add_co_ci_u32_e64 v12, s0, 0, v9, s0
	v_sub_co_u32 v13, s0, v2, s28
	v_sub_co_ci_u32_e32 v3, vcc_lo, v7, v3, vcc_lo
	v_subrev_co_ci_u32_e64 v10, s0, 0, v10, s0
	v_cmp_le_u32_e32 vcc_lo, s28, v13
	v_cmp_eq_u32_e64 s0, s29, v3
	v_cndmask_b32_e64 v13, 0, -1, vcc_lo
	v_cmp_le_u32_e32 vcc_lo, s29, v10
	v_cndmask_b32_e64 v14, 0, -1, vcc_lo
	v_cmp_le_u32_e32 vcc_lo, s28, v2
	;; [unrolled: 2-line block ×3, first 2 shown]
	v_cndmask_b32_e64 v15, 0, -1, vcc_lo
	v_cmp_eq_u32_e32 vcc_lo, s29, v10
	v_cndmask_b32_e64 v2, v15, v2, s0
	v_cndmask_b32_e32 v10, v14, v13, vcc_lo
	v_add_co_u32 v13, vcc_lo, v8, 1
	v_add_co_ci_u32_e32 v14, vcc_lo, 0, v9, vcc_lo
	v_cmp_ne_u32_e32 vcc_lo, 0, v10
	v_cndmask_b32_e32 v3, v14, v12, vcc_lo
	v_cndmask_b32_e32 v10, v13, v11, vcc_lo
	v_cmp_ne_u32_e32 vcc_lo, 0, v2
	v_cndmask_b32_e32 v171, v9, v3, vcc_lo
	v_cndmask_b32_e32 v170, v8, v10, vcc_lo
.LBB0_4:                                ;   in Loop: Header=BB0_2 Depth=1
	s_andn2_saveexec_b32 s0, s1
	s_cbranch_execz .LBB0_6
; %bb.5:                                ;   in Loop: Header=BB0_2 Depth=1
	v_cvt_f32_u32_e32 v2, s28
	s_sub_i32 s1, 0, s28
	v_mov_b32_e32 v171, v1
	v_rcp_iflag_f32_e32 v2, v2
	v_mul_f32_e32 v2, 0x4f7ffffe, v2
	v_cvt_u32_f32_e32 v2, v2
	v_mul_lo_u32 v3, s1, v2
	v_mul_hi_u32 v3, v2, v3
	v_add_nc_u32_e32 v2, v2, v3
	v_mul_hi_u32 v2, v6, v2
	v_mul_lo_u32 v3, v2, s28
	v_add_nc_u32_e32 v8, 1, v2
	v_sub_nc_u32_e32 v3, v6, v3
	v_subrev_nc_u32_e32 v9, s28, v3
	v_cmp_le_u32_e32 vcc_lo, s28, v3
	v_cndmask_b32_e32 v3, v3, v9, vcc_lo
	v_cndmask_b32_e32 v2, v2, v8, vcc_lo
	v_cmp_le_u32_e32 vcc_lo, s28, v3
	v_add_nc_u32_e32 v8, 1, v2
	v_cndmask_b32_e32 v170, v2, v8, vcc_lo
.LBB0_6:                                ;   in Loop: Header=BB0_2 Depth=1
	s_or_b32 exec_lo, exec_lo, s0
	v_mul_lo_u32 v8, v171, s28
	v_mul_lo_u32 v9, v170, s29
	s_load_dwordx2 s[0:1], s[22:23], 0x0
	v_mad_u64_u32 v[2:3], null, v170, s28, 0
	s_load_dwordx2 s[28:29], s[6:7], 0x0
	s_add_u32 s26, s26, 1
	s_addc_u32 s27, s27, 0
	s_add_u32 s6, s6, 8
	s_addc_u32 s7, s7, 0
	s_add_u32 s22, s22, 8
	v_add3_u32 v3, v3, v9, v8
	v_sub_co_u32 v2, vcc_lo, v6, v2
	s_addc_u32 s23, s23, 0
	s_add_u32 s24, s24, 8
	v_sub_co_ci_u32_e32 v3, vcc_lo, v7, v3, vcc_lo
	s_addc_u32 s25, s25, 0
	s_waitcnt lgkmcnt(0)
	v_mul_lo_u32 v6, s0, v3
	v_mul_lo_u32 v7, s1, v2
	v_mad_u64_u32 v[4:5], null, s0, v2, v[4:5]
	v_mul_lo_u32 v3, s28, v3
	v_mul_lo_u32 v8, s29, v2
	v_mad_u64_u32 v[168:169], null, s28, v2, v[168:169]
	v_cmp_ge_u64_e64 s0, s[26:27], s[10:11]
	v_add3_u32 v5, v7, v5, v6
	v_add3_u32 v169, v8, v169, v3
	s_and_b32 vcc_lo, exec_lo, s0
	s_cbranch_vccnz .LBB0_9
; %bb.7:                                ;   in Loop: Header=BB0_2 Depth=1
	v_mov_b32_e32 v6, v170
	v_mov_b32_e32 v7, v171
	s_branch .LBB0_2
.LBB0_8:
	v_mov_b32_e32 v169, v5
	v_mov_b32_e32 v171, v7
	;; [unrolled: 1-line block ×4, first 2 shown]
.LBB0_9:
	s_load_dwordx2 s[0:1], s[4:5], 0x28
	v_mul_hi_u32 v1, 0x4104105, v0
	s_lshl_b64 s[6:7], s[10:11], 3
                                        ; implicit-def: $vgpr192
                                        ; implicit-def: $vgpr128
                                        ; implicit-def: $vgpr129
                                        ; implicit-def: $vgpr193
                                        ; implicit-def: $vgpr115
                                        ; implicit-def: $vgpr116
                                        ; implicit-def: $vgpr114
                                        ; implicit-def: $vgpr117
                                        ; implicit-def: $vgpr101
                                        ; implicit-def: $vgpr98
                                        ; implicit-def: $vgpr99
                                        ; implicit-def: $vgpr100
	s_add_u32 s4, s18, s6
	s_addc_u32 s5, s19, s7
	s_waitcnt lgkmcnt(0)
	v_cmp_gt_u64_e32 vcc_lo, s[0:1], v[170:171]
	v_cmp_le_u64_e64 s0, s[0:1], v[170:171]
	s_and_saveexec_b32 s1, s0
	s_xor_b32 s0, exec_lo, s1
	s_cbranch_execz .LBB0_11
; %bb.10:
	v_mul_u32_u24_e32 v1, 63, v1
                                        ; implicit-def: $vgpr4_vgpr5
	v_sub_nc_u32_e32 v192, v0, v1
                                        ; implicit-def: $vgpr1
                                        ; implicit-def: $vgpr0
	v_add_nc_u32_e32 v128, 63, v192
	v_add_nc_u32_e32 v129, 0x7e, v192
	;; [unrolled: 1-line block ×11, first 2 shown]
.LBB0_11:
	s_or_saveexec_b32 s1, s0
                                        ; implicit-def: $vgpr60_vgpr61
                                        ; implicit-def: $vgpr10_vgpr11
                                        ; implicit-def: $vgpr56_vgpr57
                                        ; implicit-def: $vgpr20_vgpr21
                                        ; implicit-def: $vgpr64_vgpr65
                                        ; implicit-def: $vgpr24_vgpr25
                                        ; implicit-def: $vgpr68_vgpr69
                                        ; implicit-def: $vgpr28_vgpr29
                                        ; implicit-def: $vgpr72_vgpr73
                                        ; implicit-def: $vgpr32_vgpr33
                                        ; implicit-def: $vgpr76_vgpr77
                                        ; implicit-def: $vgpr36_vgpr37
                                        ; implicit-def: $vgpr80_vgpr81
                                        ; implicit-def: $vgpr40_vgpr41
                                        ; implicit-def: $vgpr84_vgpr85
                                        ; implicit-def: $vgpr44_vgpr45
                                        ; implicit-def: $vgpr92_vgpr93
                                        ; implicit-def: $vgpr48_vgpr49
                                        ; implicit-def: $vgpr96_vgpr97
                                        ; implicit-def: $vgpr52_vgpr53
                                        ; implicit-def: $vgpr88_vgpr89
                                        ; implicit-def: $vgpr14_vgpr15
                                        ; implicit-def: $vgpr6_vgpr7
                                        ; implicit-def: $vgpr2_vgpr3
	s_xor_b32 exec_lo, exec_lo, s1
	s_cbranch_execz .LBB0_13
; %bb.12:
	s_add_u32 s6, s16, s6
	s_addc_u32 s7, s17, s7
	v_mul_u32_u24_e32 v1, 63, v1
	s_load_dwordx2 s[6:7], s[6:7], 0x0
	v_lshlrev_b64 v[4:5], 4, v[4:5]
	v_sub_nc_u32_e32 v192, v0, v1
	v_add_nc_u32_e32 v14, 0x2f4, v192
	v_add_nc_u32_e32 v128, 63, v192
	;; [unrolled: 1-line block ×3, first 2 shown]
	v_mad_u64_u32 v[0:1], null, s20, v192, 0
	v_mad_u64_u32 v[2:3], null, s20, v14, 0
	;; [unrolled: 1-line block ×4, first 2 shown]
	s_waitcnt lgkmcnt(0)
	v_mul_lo_u32 v15, s7, v170
	v_mul_lo_u32 v16, s6, v171
	v_mad_u64_u32 v[6:7], null, s6, v170, 0
	v_mad_u64_u32 v[8:9], null, s21, v192, v[1:2]
	v_mov_b32_e32 v9, v11
	v_add_nc_u32_e32 v129, 0x7e, v192
	v_mov_b32_e32 v11, v13
	v_mad_u64_u32 v[13:14], null, s21, v14, v[3:4]
	v_add3_u32 v7, v7, v16, v15
	v_mad_u64_u32 v[14:15], null, s21, v128, v[9:10]
	v_mad_u64_u32 v[15:16], null, s20, v129, 0
	v_lshlrev_b64 v[6:7], 4, v[6:7]
	v_mad_u64_u32 v[17:18], null, s21, v17, v[11:12]
	v_mov_b32_e32 v1, v8
	v_add_nc_u32_e32 v21, 0x372, v192
	v_mov_b32_e32 v3, v13
	v_add_co_u32 v6, s0, s12, v6
	v_add_co_ci_u32_e64 v7, s0, s13, v7, s0
	v_mov_b32_e32 v11, v14
	v_mov_b32_e32 v14, v16
	v_lshlrev_b64 v[0:1], 4, v[0:1]
	v_add_co_u32 v8, s0, v6, v4
	v_mov_b32_e32 v13, v17
	v_mad_u64_u32 v[17:18], null, s20, v21, 0
	v_add_co_ci_u32_e64 v9, s0, v7, v5, s0
	v_lshlrev_b64 v[2:3], 4, v[2:3]
	v_mad_u64_u32 v[19:20], null, s21, v129, v[14:15]
	v_add_co_u32 v0, s0, v8, v0
	v_lshlrev_b64 v[10:11], 4, v[10:11]
	v_add_nc_u32_e32 v193, 0xbd, v192
	v_add_co_ci_u32_e64 v1, s0, v9, v1, s0
	v_add_co_u32 v4, s0, v8, v2
	v_lshlrev_b64 v[12:13], 4, v[12:13]
	v_mov_b32_e32 v14, v18
	v_add_co_ci_u32_e64 v5, s0, v9, v3, s0
	v_add_co_u32 v10, s0, v8, v10
	v_mov_b32_e32 v16, v19
	v_mad_u64_u32 v[19:20], null, s20, v193, 0
	v_add_nc_u32_e32 v26, 0x3b1, v192
	v_add_co_ci_u32_e64 v11, s0, v9, v11, s0
	v_mad_u64_u32 v[21:22], null, s21, v21, v[14:15]
	v_add_co_u32 v22, s0, v8, v12
	v_add_co_ci_u32_e64 v23, s0, v9, v13, s0
	v_lshlrev_b64 v[12:13], 4, v[15:16]
	v_mad_u64_u32 v[15:16], null, s20, v26, 0
	v_mov_b32_e32 v14, v20
	v_mov_b32_e32 v18, v21
	v_add_nc_u32_e32 v115, 0xfc, v192
	v_add_co_u32 v24, s0, v8, v12
	v_add_co_ci_u32_e64 v25, s0, v9, v13, s0
	v_mad_u64_u32 v[20:21], null, s21, v193, v[14:15]
	v_mov_b32_e32 v14, v16
	v_lshlrev_b64 v[12:13], 4, v[17:18]
	v_mad_u64_u32 v[17:18], null, s20, v115, 0
	v_add_nc_u32_e32 v21, 0x3f0, v192
	v_mad_u64_u32 v[26:27], null, s21, v26, v[14:15]
	v_add_co_u32 v27, s0, v8, v12
	v_add_co_ci_u32_e64 v28, s0, v9, v13, s0
	v_lshlrev_b64 v[12:13], 4, v[19:20]
	v_mov_b32_e32 v14, v18
	v_mov_b32_e32 v16, v26
	v_mad_u64_u32 v[19:20], null, s20, v21, 0
	v_add_nc_u32_e32 v116, 0x13b, v192
	v_mad_u64_u32 v[29:30], null, s21, v115, v[14:15]
	v_add_co_u32 v30, s0, v8, v12
	v_add_co_ci_u32_e64 v31, s0, v9, v13, s0
	v_lshlrev_b64 v[12:13], 4, v[15:16]
	v_mad_u64_u32 v[15:16], null, s20, v116, 0
	v_mov_b32_e32 v14, v20
	v_mov_b32_e32 v18, v29
	v_add_nc_u32_e32 v114, 0x17a, v192
	v_add_co_u32 v32, s0, v8, v12
	v_add_co_ci_u32_e64 v33, s0, v9, v13, s0
	v_mad_u64_u32 v[20:21], null, s21, v21, v[14:15]
	v_add_nc_u32_e32 v21, 0x42f, v192
	v_mov_b32_e32 v14, v16
	v_lshlrev_b64 v[12:13], 4, v[17:18]
	v_add_nc_u32_e32 v26, 0x46e, v192
	v_add_nc_u32_e32 v117, 0x1b9, v192
	v_mad_u64_u32 v[17:18], null, s20, v21, 0
	v_mad_u64_u32 v[34:35], null, s21, v116, v[14:15]
	v_add_co_u32 v35, s0, v8, v12
	v_add_co_ci_u32_e64 v36, s0, v9, v13, s0
	v_lshlrev_b64 v[12:13], 4, v[19:20]
	v_mov_b32_e32 v14, v18
	v_mov_b32_e32 v16, v34
	v_mad_u64_u32 v[19:20], null, s20, v114, 0
	v_add_nc_u32_e32 v101, 0x1f8, v192
	v_mad_u64_u32 v[37:38], null, s21, v21, v[14:15]
	v_add_co_u32 v38, s0, v8, v12
	v_add_co_ci_u32_e64 v39, s0, v9, v13, s0
	v_lshlrev_b64 v[12:13], 4, v[15:16]
	v_mad_u64_u32 v[15:16], null, s20, v26, 0
	v_mov_b32_e32 v14, v20
	v_mov_b32_e32 v18, v37
	v_add_nc_u32_e32 v98, 0x237, v192
	v_add_co_u32 v40, s0, v8, v12
	v_add_co_ci_u32_e64 v41, s0, v9, v13, s0
	v_mad_u64_u32 v[20:21], null, s21, v114, v[14:15]
	v_mov_b32_e32 v14, v16
	v_lshlrev_b64 v[12:13], 4, v[17:18]
	v_mad_u64_u32 v[17:18], null, s20, v117, 0
	v_add_nc_u32_e32 v21, 0x4ad, v192
	v_mad_u64_u32 v[42:43], null, s21, v26, v[14:15]
	v_add_co_u32 v54, s0, v8, v12
	v_add_co_ci_u32_e64 v55, s0, v9, v13, s0
	v_lshlrev_b64 v[12:13], 4, v[19:20]
	v_mov_b32_e32 v14, v18
	v_mov_b32_e32 v16, v42
	v_mad_u64_u32 v[19:20], null, s20, v21, 0
	v_add_nc_u32_e32 v26, 0x52b, v192
	v_add_co_u32 v56, s0, v8, v12
	v_mad_u64_u32 v[42:43], null, s21, v117, v[14:15]
	v_add_co_ci_u32_e64 v57, s0, v9, v13, s0
	v_lshlrev_b64 v[12:13], 4, v[15:16]
	v_mad_u64_u32 v[15:16], null, s20, v101, 0
	v_mov_b32_e32 v14, v20
	v_mov_b32_e32 v18, v42
	v_add_nc_u32_e32 v99, 0x276, v192
	v_add_co_u32 v58, s0, v8, v12
	v_add_co_ci_u32_e64 v59, s0, v9, v13, s0
	v_mad_u64_u32 v[20:21], null, s21, v21, v[14:15]
	v_add_nc_u32_e32 v21, 0x4ec, v192
	v_lshlrev_b64 v[12:13], 4, v[17:18]
	v_mov_b32_e32 v14, v16
	v_add_nc_u32_e32 v100, 0x2b5, v192
	s_clause 0x1
	global_load_dwordx4 v[0:3], v[0:1], off
	global_load_dwordx4 v[4:7], v[4:5], off
	v_mad_u64_u32 v[17:18], null, s20, v21, 0
	v_mad_u64_u32 v[42:43], null, s21, v101, v[14:15]
	v_add_co_u32 v60, s0, v8, v12
	v_add_co_ci_u32_e64 v61, s0, v9, v13, s0
	v_mov_b32_e32 v14, v18
	v_lshlrev_b64 v[12:13], 4, v[19:20]
	v_mov_b32_e32 v16, v42
	v_mad_u64_u32 v[19:20], null, s20, v98, 0
	v_mad_u64_u32 v[42:43], null, s21, v21, v[14:15]
	v_add_co_u32 v62, s0, v8, v12
	v_add_co_ci_u32_e64 v63, s0, v9, v13, s0
	v_lshlrev_b64 v[12:13], 4, v[15:16]
	v_mad_u64_u32 v[15:16], null, s20, v26, 0
	v_mov_b32_e32 v14, v20
	v_mov_b32_e32 v18, v42
	v_add_co_u32 v64, s0, v8, v12
	v_add_co_ci_u32_e64 v65, s0, v9, v13, s0
	v_mad_u64_u32 v[20:21], null, s21, v98, v[14:15]
	v_lshlrev_b64 v[12:13], 4, v[17:18]
	v_mad_u64_u32 v[17:18], null, s20, v99, 0
	v_mov_b32_e32 v14, v16
	v_add_nc_u32_e32 v21, 0x56a, v192
	v_add_co_u32 v66, s0, v8, v12
	v_mad_u64_u32 v[42:43], null, s21, v26, v[14:15]
	v_add_co_ci_u32_e64 v67, s0, v9, v13, s0
	v_lshlrev_b64 v[13:14], 4, v[19:20]
	v_mov_b32_e32 v12, v18
	v_add_nc_u32_e32 v26, 0x5a9, v192
	v_mov_b32_e32 v16, v42
	v_mad_u64_u32 v[42:43], null, s20, v100, 0
	v_mad_u64_u32 v[18:19], null, s21, v99, v[12:13]
	;; [unrolled: 1-line block ×3, first 2 shown]
	v_add_co_u32 v102, s0, v8, v13
	v_add_co_ci_u32_e64 v103, s0, v9, v14, s0
	v_mad_u64_u32 v[44:45], null, s20, v26, 0
	v_mov_b32_e32 v14, v20
	v_lshlrev_b64 v[12:13], 4, v[15:16]
	v_mad_u64_u32 v[14:15], null, s21, v21, v[14:15]
	v_mov_b32_e32 v15, v43
	v_add_co_u32 v104, s0, v8, v12
	v_mov_b32_e32 v12, v45
	v_add_co_ci_u32_e64 v105, s0, v9, v13, s0
	v_mad_u64_u32 v[45:46], null, s21, v100, v[15:16]
	v_mad_u64_u32 v[46:47], null, s21, v26, v[12:13]
	v_mov_b32_e32 v20, v14
	v_lshlrev_b64 v[16:17], 4, v[17:18]
	s_clause 0x1
	global_load_dwordx4 v[12:15], v[10:11], off
	global_load_dwordx4 v[86:89], v[22:23], off
	v_mov_b32_e32 v43, v45
	v_lshlrev_b64 v[10:11], 4, v[19:20]
	v_mov_b32_e32 v45, v46
	v_add_co_u32 v16, s0, v8, v16
	v_lshlrev_b64 v[18:19], 4, v[42:43]
	v_add_co_ci_u32_e64 v17, s0, v9, v17, s0
	v_add_co_u32 v10, s0, v8, v10
	v_lshlrev_b64 v[20:21], 4, v[44:45]
	v_add_co_ci_u32_e64 v11, s0, v9, v11, s0
	v_add_co_u32 v106, s0, v8, v18
	v_add_co_ci_u32_e64 v107, s0, v9, v19, s0
	v_add_co_u32 v108, s0, v8, v20
	v_add_co_ci_u32_e64 v109, s0, v9, v21, s0
	s_clause 0x13
	global_load_dwordx4 v[50:53], v[24:25], off
	global_load_dwordx4 v[94:97], v[27:28], off
	;; [unrolled: 1-line block ×20, first 2 shown]
.LBB0_13:
	s_or_b32 exec_lo, exec_lo, s1
	s_waitcnt vmcnt(22)
	v_add_f64 v[104:105], v[0:1], -v[4:5]
	s_waitcnt vmcnt(20)
	v_add_f64 v[108:109], v[12:13], -v[86:87]
	;; [unrolled: 2-line block ×9, first 2 shown]
	v_lshl_add_u32 v83, v192, 4, 0
	v_lshl_add_u32 v94, v128, 4, 0
	;; [unrolled: 1-line block ×4, first 2 shown]
	s_waitcnt vmcnt(4)
	v_add_f64 v[149:150], v[22:23], -v[62:63]
	s_waitcnt vmcnt(2)
	v_add_f64 v[153:154], v[18:19], -v[54:55]
	v_add_f64 v[161:162], v[2:3], -v[6:7]
	v_lshl_add_u32 v126, v115, 4, 0
	s_waitcnt vmcnt(0)
	v_add_f64 v[157:158], v[8:9], -v[58:59]
	v_lshl_add_u32 v127, v116, 4, 0
	v_lshl_add_u32 v163, v114, 4, 0
	;; [unrolled: 1-line block ×3, first 2 shown]
	v_add_f64 v[86:87], v[14:15], -v[88:89]
	v_fma_f64 v[102:103], v[0:1], 2.0, -v[104:105]
	v_fma_f64 v[106:107], v[12:13], 2.0, -v[108:109]
	;; [unrolled: 1-line block ×9, first 2 shown]
	v_add_f64 v[26:27], v[24:25], -v[64:65]
	v_add_f64 v[90:91], v[52:53], -v[96:97]
	;; [unrolled: 1-line block ×8, first 2 shown]
	v_fma_f64 v[147:148], v[22:23], 2.0, -v[149:150]
	v_fma_f64 v[151:152], v[18:19], 2.0, -v[153:154]
	;; [unrolled: 1-line block ×5, first 2 shown]
	ds_write_b128 v83, v[102:105]
	ds_write_b128 v94, v[106:109]
	;; [unrolled: 1-line block ×8, first 2 shown]
	v_add_f64 v[105:106], v[20:21], -v[56:57]
	v_add_f64 v[109:110], v[10:11], -v[60:61]
	v_lshlrev_b32_e32 v1, 3, v116
	v_lshlrev_b32_e32 v2, 3, v114
	v_lshl_add_u32 v165, v101, 4, 0
	v_lshlrev_b32_e32 v0, 3, v115
	v_lshl_add_u32 v130, v192, 3, 0
	v_sub_nc_u32_e32 v121, v127, v1
	v_fma_f64 v[24:25], v[24:25], 2.0, -v[26:27]
	v_fma_f64 v[88:89], v[52:53], 2.0, -v[90:91]
	;; [unrolled: 1-line block ×8, first 2 shown]
	v_lshlrev_b32_e32 v1, 3, v101
	v_lshl_add_u32 v166, v98, 4, 0
	v_sub_nc_u32_e32 v140, v163, v2
	v_lshlrev_b32_e32 v2, 3, v98
	v_lshl_add_u32 v167, v99, 4, 0
	v_lshlrev_b32_e32 v3, 3, v99
	v_fma_f64 v[103:104], v[20:21], 2.0, -v[105:106]
	v_fma_f64 v[107:108], v[10:11], 2.0, -v[109:110]
	v_lshl_add_u32 v111, v100, 4, 0
	v_lshlrev_b32_e32 v4, 3, v100
	v_lshlrev_b32_e32 v139, 3, v193
	v_sub_nc_u32_e32 v120, v126, v0
	v_lshlrev_b32_e32 v0, 3, v117
	v_sub_nc_u32_e32 v119, v165, v1
	v_add_nc_u32_e32 v134, 0x1800, v130
	v_sub_nc_u32_e32 v78, v166, v2
	v_lshl_add_u32 v131, v128, 3, 0
	v_add_nc_u32_e32 v135, 0x1c00, v130
	v_sub_nc_u32_e32 v79, v167, v3
	v_lshl_add_u32 v132, v129, 3, 0
	v_add_nc_u32_e32 v136, 0x2000, v130
	v_sub_nc_u32_e32 v82, v111, v4
	v_sub_nc_u32_e32 v122, v138, v139
	v_add_nc_u32_e32 v76, 0x2400, v130
	ds_write_b128 v165, v[143:146]
	ds_write_b128 v166, v[147:150]
	v_add_nc_u32_e32 v133, 0x1400, v130
	v_add_nc_u32_e32 v137, 0x2800, v130
	s_load_dwordx2 s[4:5], s[4:5], 0x0
	ds_write_b128 v167, v[151:154]
	ds_write_b128 v111, v[155:158]
	s_waitcnt lgkmcnt(0)
	s_barrier
	buffer_gl0_inv
	v_sub_nc_u32_e32 v118, v164, v0
	ds_read_b64 v[54:55], v130
	ds_read_b64 v[56:57], v131
	;; [unrolled: 1-line block ×12, first 2 shown]
	ds_read2_b64 v[16:19], v133 offset0:116 offset1:179
	ds_read2_b64 v[20:23], v134 offset0:114 offset1:177
	;; [unrolled: 1-line block ×6, first 2 shown]
	s_waitcnt lgkmcnt(0)
	s_barrier
	buffer_gl0_inv
	ds_write_b128 v83, v[159:162]
	ds_write_b128 v94, v[84:87]
	ds_write_b128 v95, v[88:91]
	ds_write_b128 v138, v[48:51]
	ds_write_b128 v126, v[44:47]
	ds_write_b128 v127, v[40:43]
	ds_write_b128 v163, v[36:39]
	ds_write_b128 v164, v[32:35]
	ds_write_b128 v165, v[28:31]
	v_and_b32_e32 v95, 1, v192
	ds_write_b128 v166, v[24:27]
	ds_write_b128 v167, v[103:106]
	;; [unrolled: 1-line block ×3, first 2 shown]
	v_and_b32_e32 v103, 1, v193
	v_and_b32_e32 v105, 1, v116
	;; [unrolled: 1-line block ×6, first 2 shown]
	v_lshlrev_b32_e32 v24, 4, v95
	v_lshlrev_b32_e32 v32, 4, v103
	;; [unrolled: 1-line block ×7, first 2 shown]
	s_waitcnt lgkmcnt(0)
	s_barrier
	buffer_gl0_inv
	s_clause 0x6
	global_load_dwordx4 v[24:27], v24, s[8:9]
	global_load_dwordx4 v[28:31], v28, s[8:9]
	;; [unrolled: 1-line block ×7, first 2 shown]
	v_lshlrev_b32_e32 v92, 1, v192
	v_lshlrev_b32_e32 v77, 1, v128
	;; [unrolled: 1-line block ×10, first 2 shown]
	v_and_or_b32 v109, 0x7c, v92, v95
	v_and_or_b32 v102, 0xfc, v77, v102
	;; [unrolled: 1-line block ×10, first 2 shown]
	v_lshl_add_u32 v220, v109, 3, 0
	v_lshl_add_u32 v221, v102, 3, 0
	;; [unrolled: 1-line block ×10, first 2 shown]
	ds_read2_b64 v[105:108], v133 offset0:116 offset1:179
	ds_read2_b64 v[109:112], v134 offset0:114 offset1:177
	;; [unrolled: 1-line block ×6, first 2 shown]
	ds_read_b64 v[102:103], v130
	ds_read_b64 v[153:154], v131
	;; [unrolled: 1-line block ×12, first 2 shown]
	v_lshlrev_b32_e32 v86, 1, v101
	v_lshlrev_b32_e32 v89, 1, v99
	v_and_b32_e32 v91, 3, v129
	v_and_b32_e32 v93, 3, v193
	;; [unrolled: 1-line block ×5, first 2 shown]
	v_and_or_b32 v113, 0x7fc, v86, v95
	v_and_or_b32 v95, 0x5fc, v89, v95
	v_lshlrev_b32_e32 v127, 4, v91
	v_lshlrev_b32_e32 v167, 4, v93
	;; [unrolled: 1-line block ×4, first 2 shown]
	v_and_b32_e32 v104, 3, v116
	v_lshlrev_b32_e32 v216, 4, v94
	v_and_b32_e32 v96, 3, v117
	v_lshl_add_u32 v113, v113, 3, 0
	v_lshl_add_u32 v95, v95, 3, 0
	s_waitcnt vmcnt(0) lgkmcnt(0)
	s_barrier
	buffer_gl0_inv
	v_and_b32_e32 v98, 3, v98
	v_and_b32_e32 v99, 3, v99
	;; [unrolled: 1-line block ×3, first 2 shown]
	v_lshlrev_b32_e32 v217, 4, v96
	s_mov_b32 s6, 0xe8584caa
	s_mov_b32 s7, 0xbfebb67a
	s_mov_b32 s11, 0x3febb67a
	s_mov_b32 s10, s6
	v_cmp_gt_u32_e64 s0, 9, v192
	v_mul_f64 v[180:181], v[105:106], v[26:27]
	v_mul_f64 v[182:183], v[107:108], v[30:31]
	;; [unrolled: 1-line block ×24, first 2 shown]
	v_fma_f64 v[16:17], v[16:17], v[24:25], v[180:181]
	v_fma_f64 v[18:19], v[18:19], v[28:29], v[182:183]
	v_fma_f64 v[28:29], v[107:108], v[28:29], -v[30:31]
	v_fma_f64 v[30:31], v[105:106], v[24:25], -v[184:185]
	v_fma_f64 v[22:23], v[22:23], v[32:33], v[188:189]
	v_fma_f64 v[14:15], v[14:15], v[40:41], v[196:197]
	;; [unrolled: 1-line block ×9, first 2 shown]
	v_fma_f64 v[32:33], v[111:112], v[32:33], -v[34:35]
	v_fma_f64 v[34:35], v[109:110], v[24:25], -v[190:191]
	;; [unrolled: 1-line block ×6, first 2 shown]
	v_fma_f64 v[4:5], v[4:5], v[24:25], v[202:203]
	v_fma_f64 v[36:37], v[147:148], v[36:37], -v[38:39]
	v_fma_f64 v[38:39], v[145:146], v[24:25], -v[214:215]
	;; [unrolled: 1-line block ×4, first 2 shown]
	v_add_f64 v[16:17], v[54:55], -v[16:17]
	v_add_f64 v[18:19], v[56:57], -v[18:19]
	;; [unrolled: 1-line block ×24, first 2 shown]
	v_fma_f64 v[48:49], v[54:55], 2.0, -v[16:17]
	v_fma_f64 v[50:51], v[56:57], 2.0, -v[18:19]
	;; [unrolled: 1-line block ×24, first 2 shown]
	ds_write2_b64 v220, v[48:49], v[16:17] offset1:2
	ds_write2_b64 v221, v[50:51], v[18:19] offset1:2
	;; [unrolled: 1-line block ×12, first 2 shown]
	s_waitcnt lgkmcnt(0)
	s_barrier
	buffer_gl0_inv
	ds_read_b64 v[147:148], v130
	ds_read_b64 v[149:150], v131
	;; [unrolled: 1-line block ×12, first 2 shown]
	ds_read2_b64 v[0:3], v133 offset0:116 offset1:179
	ds_read2_b64 v[4:7], v134 offset0:114 offset1:177
	;; [unrolled: 1-line block ×6, first 2 shown]
	s_waitcnt lgkmcnt(0)
	s_barrier
	buffer_gl0_inv
	ds_write2_b64 v220, v[72:73], v[30:31] offset1:2
	ds_write2_b64 v221, v[74:75], v[28:29] offset1:2
	;; [unrolled: 1-line block ×12, first 2 shown]
	s_waitcnt lgkmcnt(0)
	s_barrier
	buffer_gl0_inv
	s_clause 0x3
	global_load_dwordx4 v[24:27], v127, s[8:9] offset:32
	global_load_dwordx4 v[28:31], v167, s[8:9] offset:32
	;; [unrolled: 1-line block ×4, first 2 shown]
	v_lshlrev_b32_e32 v44, 4, v104
	global_load_dwordx4 v[40:43], v216, s[8:9] offset:32
	v_lshlrev_b32_e32 v52, 4, v98
	v_lshlrev_b32_e32 v56, 4, v99
	;; [unrolled: 1-line block ×3, first 2 shown]
	s_clause 0x4
	global_load_dwordx4 v[44:47], v44, s[8:9] offset:32
	global_load_dwordx4 v[48:51], v217, s[8:9] offset:32
	;; [unrolled: 1-line block ×5, first 2 shown]
	v_and_or_b32 v64, 0x78, v92, v101
	v_and_or_b32 v65, 0xf8, v77, v97
	;; [unrolled: 1-line block ×12, first 2 shown]
	v_lshl_add_u32 v127, v64, 3, 0
	v_lshl_add_u32 v146, v65, 3, 0
	;; [unrolled: 1-line block ×12, first 2 shown]
	ds_read2_b64 v[64:67], v134 offset0:114 offset1:177
	ds_read2_b64 v[68:71], v136 offset0:110 offset1:173
	;; [unrolled: 1-line block ×6, first 2 shown]
	ds_read_b64 v[76:77], v79
	ds_read_b64 v[79:80], v82
	;; [unrolled: 1-line block ×12, first 2 shown]
	v_and_b32_e32 v113, 7, v128
	v_and_b32_e32 v124, 7, v129
	v_add_nc_u32_e32 v141, 0x1000, v130
	s_waitcnt vmcnt(0) lgkmcnt(0)
	s_barrier
	v_lshlrev_b32_e32 v91, 5, v113
	v_lshlrev_b32_e32 v123, 5, v124
	buffer_gl0_inv
	v_mul_f64 v[144:145], v[66:67], v[30:31]
	v_mul_f64 v[142:143], v[64:65], v[26:27]
	;; [unrolled: 1-line block ×24, first 2 shown]
	v_fma_f64 v[4:5], v[4:5], v[24:25], v[142:143]
	v_fma_f64 v[24:25], v[64:65], v[24:25], -v[26:27]
	v_fma_f64 v[0:1], v[0:1], v[36:37], v[176:177]
	v_fma_f64 v[6:7], v[6:7], v[28:29], v[144:145]
	v_fma_f64 v[26:27], v[66:67], v[28:29], -v[30:31]
	v_fma_f64 v[28:29], v[72:73], v[36:37], -v[198:199]
	v_fma_f64 v[2:3], v[2:3], v[32:33], v[178:179]
	v_fma_f64 v[30:31], v[74:75], v[32:33], -v[34:35]
	v_fma_f64 v[8:9], v[8:9], v[36:37], v[182:183]
	v_fma_f64 v[12:13], v[12:13], v[40:41], v[180:181]
	v_fma_f64 v[32:33], v[68:69], v[40:41], -v[42:43]
	v_fma_f64 v[40:41], v[83:84], v[36:37], -v[200:201]
	v_fma_f64 v[10:11], v[10:11], v[44:45], v[184:185]
	v_fma_f64 v[42:43], v[85:86], v[44:45], -v[46:47]
	v_fma_f64 v[14:15], v[14:15], v[48:49], v[186:187]
	;; [unrolled: 2-line block ×6, first 2 shown]
	v_fma_f64 v[46:47], v[95:96], v[60:61], -v[62:63]
	v_add_f64 v[0:1], v[147:148], -v[0:1]
	v_add_f64 v[4:5], v[151:152], -v[4:5]
	;; [unrolled: 1-line block ×24, first 2 shown]
	v_fma_f64 v[24:25], v[147:148], 2.0, -v[0:1]
	v_fma_f64 v[72:73], v[99:100], 2.0, -v[28:29]
	;; [unrolled: 1-line block ×24, first 2 shown]
	ds_write2_b64 v127, v[24:25], v[0:1] offset1:4
	ds_write2_b64 v146, v[26:27], v[2:3] offset1:4
	;; [unrolled: 1-line block ×12, first 2 shown]
	s_waitcnt lgkmcnt(0)
	s_barrier
	buffer_gl0_inv
	ds_read_b64 v[103:104], v130
	ds_read2_b64 v[0:3], v134 offset0:177 offset1:240
	ds_read2_b64 v[24:27], v141 offset0:55 offset1:118
	;; [unrolled: 1-line block ×4, first 2 shown]
	ds_read_b64 v[101:102], v122
	ds_read_b64 v[99:100], v120
	ds_read_b64 v[97:98], v121
	ds_read_b64 v[93:94], v140
	ds_read_b64 v[111:112], v119
	ds_read_b64 v[95:96], v118
	ds_read_b64 v[105:106], v132
	ds_read_b64 v[107:108], v131
	ds_read_b64 v[109:110], v130 offset:11592
	ds_read2_b64 v[16:19], v136 offset0:173 offset1:236
	ds_read2_b64 v[12:15], v134 offset0:51 offset1:114
	;; [unrolled: 1-line block ×3, first 2 shown]
	s_waitcnt lgkmcnt(0)
	s_barrier
	buffer_gl0_inv
	ds_write2_b64 v127, v[72:73], v[28:29] offset1:4
	ds_write2_b64 v146, v[74:75], v[30:31] offset1:4
	;; [unrolled: 1-line block ×12, first 2 shown]
	s_waitcnt lgkmcnt(0)
	s_barrier
	buffer_gl0_inv
	s_clause 0x2
	global_load_dwordx4 v[28:31], v91, s[8:9] offset:96
	global_load_dwordx4 v[60:63], v91, s[8:9] offset:112
	;; [unrolled: 1-line block ×3, first 2 shown]
	v_and_b32_e32 v148, 7, v193
	v_and_b32_e32 v149, 7, v115
	;; [unrolled: 1-line block ×5, first 2 shown]
	v_lshlrev_b32_e32 v36, 5, v148
	s_clause 0x1
	global_load_dwordx4 v[56:59], v123, s[8:9] offset:112
	global_load_dwordx4 v[48:51], v36, s[8:9] offset:96
	v_lshlrev_b32_e32 v37, 5, v149
	v_lshlrev_b32_e32 v72, 5, v150
	;; [unrolled: 1-line block ×4, first 2 shown]
	v_and_b32_e32 v153, 7, v117
	s_clause 0x7
	global_load_dwordx4 v[52:55], v37, s[8:9] offset:96
	global_load_dwordx4 v[44:47], v36, s[8:9] offset:112
	;; [unrolled: 1-line block ×8, first 2 shown]
	v_lshlrev_b32_e32 v88, 5, v153
	s_clause 0x2
	global_load_dwordx4 v[76:79], v76, s[8:9] offset:112
	global_load_dwordx4 v[84:87], v88, s[8:9] offset:96
	;; [unrolled: 1-line block ×3, first 2 shown]
	v_lshrrev_b32_e32 v142, 3, v192
	v_lshrrev_b32_e32 v143, 3, v128
	;; [unrolled: 1-line block ×3, first 2 shown]
	v_and_b32_e32 v155, 0xff, v128
	v_and_b32_e32 v125, 0xff, v129
	v_lshrrev_b32_e32 v145, 3, v193
	v_lshrrev_b32_e32 v151, 3, v114
	;; [unrolled: 1-line block ×4, first 2 shown]
	v_mov_b32_e32 v156, 0xaaab
	v_and_b32_e32 v157, 0xff, v192
	v_mul_u32_u24_e32 v142, 24, v142
	v_mul_lo_u32 v158, v143, 24
	v_mul_lo_u32 v159, v144, 24
	v_mul_lo_u16 v143, 0xab, v155
	v_mul_lo_u16 v144, 0xab, v125
	v_mul_lo_u32 v160, v145, 24
	v_mul_lo_u32 v163, v151, 24
	;; [unrolled: 1-line block ×4, first 2 shown]
	v_mul_u32_u24_sdwa v146, v115, v156 dst_sel:DWORD dst_unused:UNUSED_PAD src0_sel:WORD_0 src1_sel:DWORD
	v_mul_u32_u24_sdwa v151, v114, v156 dst_sel:DWORD dst_unused:UNUSED_PAD src0_sel:WORD_0 src1_sel:DWORD
	v_mul_lo_u16 v155, 0xab, v157
	v_or_b32_e32 v157, v142, v127
	v_lshrrev_b16 v127, 12, v143
	v_lshrrev_b16 v142, 12, v144
	v_lshrrev_b32_e32 v144, 20, v146
	v_lshrrev_b32_e32 v146, 20, v151
	v_lshrrev_b16 v151, 12, v155
	v_or_b32_e32 v124, v159, v124
	v_or_b32_e32 v148, v160, v148
	;; [unrolled: 1-line block ×4, first 2 shown]
	v_mul_lo_u16 v154, v127, 24
	v_mul_lo_u16 v155, v142, 24
	v_lshl_add_u32 v232, v124, 3, 0
	v_lshl_add_u32 v233, v148, 3, 0
	;; [unrolled: 1-line block ×4, first 2 shown]
	v_sub_nc_u16 v124, v128, v154
	v_sub_nc_u16 v148, v129, v155
	ds_read2_b64 v[152:155], v141 offset0:55 offset1:118
	v_and_b32_e32 v126, 0xff, v193
	v_lshrrev_b32_e32 v147, 3, v116
	v_or_b32_e32 v149, v161, v149
	v_lshl_add_u32 v228, v157, 3, 0
	v_mul_lo_u16 v157, v144, 24
	v_mul_lo_u16 v145, 0xab, v126
	v_mul_lo_u32 v162, v147, 24
	v_mul_u32_u24_sdwa v147, v116, v156 dst_sel:DWORD dst_unused:UNUSED_PAD src0_sel:WORD_0 src1_sel:DWORD
	v_mul_u32_u24_sdwa v156, v117, v156 dst_sel:DWORD dst_unused:UNUSED_PAD src0_sel:WORD_0 src1_sel:DWORD
	v_or_b32_e32 v113, v158, v113
	v_lshrrev_b16 v143, 12, v145
	v_lshl_add_u32 v234, v149, 3, 0
	v_lshrrev_b32_e32 v145, 20, v147
	v_lshrrev_b32_e32 v147, 20, v156
	v_or_b32_e32 v150, v162, v150
	v_mul_lo_u16 v156, v143, 24
	v_mov_b32_e32 v123, 5
	v_lshl_add_u32 v231, v113, 3, 0
	v_mul_lo_u16 v229, v145, 24
	v_lshl_add_u32 v235, v150, 3, 0
	v_sub_nc_u16 v149, v193, v156
	v_sub_nc_u16 v150, v115, v157
	ds_read2_b64 v[156:159], v136 offset0:47 offset1:110
	ds_read2_b64 v[160:163], v141 offset0:181 offset1:244
	ds_read2_b64 v[164:167], v136 offset0:173 offset1:236
	ds_read2_b64 v[172:175], v134 offset0:51 offset1:114
	ds_read2_b64 v[176:179], v137 offset0:43 offset1:106
	ds_read_b64 v[184:185], v119
	ds_read_b64 v[186:187], v118
	ds_read2_b64 v[180:183], v134 offset0:177 offset1:240
	ds_read_b64 v[188:189], v132
	ds_read_b64 v[190:191], v131
	ds_read_b64 v[194:195], v130 offset:11592
	ds_read_b64 v[196:197], v130
	ds_read_b64 v[198:199], v122
	;; [unrolled: 1-line block ×5, first 2 shown]
	v_lshlrev_b32_sdwa v238, v123, v124 dst_sel:DWORD dst_unused:UNUSED_PAD src0_sel:DWORD src1_sel:BYTE_0
	v_lshlrev_b32_sdwa v239, v123, v148 dst_sel:DWORD dst_unused:UNUSED_PAD src0_sel:DWORD src1_sel:BYTE_0
	s_waitcnt vmcnt(0) lgkmcnt(0)
	s_barrier
	buffer_gl0_inv
	v_mul_lo_u16 v230, v151, 24
	v_mul_u32_u24_e32 v144, 0x240, v144
	v_mul_u32_u24_e32 v145, 0x240, v145
	v_mul_lo_u16 v125, v125, 57
	v_mul_lo_u16 v126, v126, 57
	v_lshrrev_b16 v125, 12, v125
	v_lshrrev_b16 v126, 12, v126
	v_mul_f64 v[206:207], v[152:153], v[30:31]
	v_mul_f64 v[30:31], v[24:25], v[30:31]
	v_mul_f64 v[208:209], v[154:155], v[34:35]
	v_mul_f64 v[34:35], v[26:27], v[34:35]
	v_mul_f64 v[210:211], v[156:157], v[62:63]
	v_mul_f64 v[62:63], v[20:21], v[62:63]
	v_mul_f64 v[212:213], v[158:159], v[58:59]
	v_mul_f64 v[58:59], v[22:23], v[58:59]
	v_mul_f64 v[214:215], v[160:161], v[50:51]
	v_mul_f64 v[50:51], v[4:5], v[50:51]
	v_mul_f64 v[216:217], v[162:163], v[54:55]
	v_mul_f64 v[224:225], v[184:185], v[66:67]
	v_mul_f64 v[226:227], v[182:183], v[70:71]
	v_mul_f64 v[220:221], v[166:167], v[38:39]
	v_fma_f64 v[24:25], v[24:25], v[28:29], v[206:207]
	v_fma_f64 v[28:29], v[152:153], v[28:29], -v[30:31]
	v_mul_f64 v[30:31], v[111:112], v[66:67]
	v_mul_f64 v[66:67], v[2:3], v[70:71]
	;; [unrolled: 1-line block ×4, first 2 shown]
	v_fma_f64 v[26:27], v[26:27], v[32:33], v[208:209]
	v_mul_f64 v[70:71], v[174:175], v[82:83]
	v_fma_f64 v[32:33], v[154:155], v[32:33], -v[34:35]
	v_mul_f64 v[34:35], v[14:15], v[82:83]
	v_mul_f64 v[82:83], v[176:177], v[74:75]
	;; [unrolled: 1-line block ×8, first 2 shown]
	v_fma_f64 v[20:21], v[20:21], v[60:61], v[210:211]
	v_fma_f64 v[60:61], v[156:157], v[60:61], -v[62:63]
	v_mul_f64 v[62:63], v[10:11], v[78:79]
	v_mul_f64 v[78:79], v[180:181], v[86:87]
	;; [unrolled: 1-line block ×3, first 2 shown]
	v_fma_f64 v[22:23], v[22:23], v[56:57], v[212:213]
	v_mul_f64 v[86:87], v[0:1], v[86:87]
	v_fma_f64 v[56:57], v[158:159], v[56:57], -v[58:59]
	v_mul_f64 v[58:59], v[109:110], v[90:91]
	v_fma_f64 v[90:91], v[111:112], v[64:65], v[224:225]
	v_fma_f64 v[2:3], v[2:3], v[68:69], v[226:227]
	v_fma_f64 v[30:31], v[184:185], v[64:65], -v[30:31]
	v_fma_f64 v[64:65], v[182:183], v[68:69], -v[66:67]
	v_fma_f64 v[6:7], v[6:7], v[52:53], v[216:217]
	v_fma_f64 v[18:19], v[18:19], v[36:37], v[220:221]
	;; [unrolled: 1-line block ×6, first 2 shown]
	v_fma_f64 v[48:49], v[160:161], v[48:49], -v[50:51]
	v_fma_f64 v[44:45], v[164:165], v[44:45], -v[46:47]
	;; [unrolled: 1-line block ×5, first 2 shown]
	v_fma_f64 v[14:15], v[14:15], v[80:81], v[70:71]
	v_fma_f64 v[40:41], v[176:177], v[72:73], -v[74:75]
	v_fma_f64 v[10:11], v[10:11], v[76:77], v[152:153]
	v_fma_f64 v[34:35], v[174:175], v[80:81], -v[34:35]
	v_fma_f64 v[42:43], v[178:179], v[76:77], -v[62:63]
	v_fma_f64 v[0:1], v[0:1], v[84:85], v[78:79]
	v_fma_f64 v[52:53], v[109:110], v[88:89], v[154:155]
	v_fma_f64 v[46:47], v[180:181], v[84:85], -v[86:87]
	v_fma_f64 v[54:55], v[194:195], v[88:89], -v[58:59]
	v_add_f64 v[58:59], v[90:91], v[2:3]
	v_add_f64 v[66:67], v[30:31], -v[64:65]
	v_add_f64 v[156:157], v[196:197], v[30:31]
	v_add_f64 v[30:31], v[30:31], v[64:65]
	;; [unrolled: 1-line block ×9, first 2 shown]
	v_add_f64 v[78:79], v[32:33], -v[56:57]
	v_add_f64 v[80:81], v[4:5], v[16:17]
	v_add_f64 v[111:112], v[12:13], v[8:9]
	;; [unrolled: 1-line block ×4, first 2 shown]
	v_add_f64 v[84:85], v[48:49], -v[44:45]
	v_add_f64 v[178:179], v[198:199], v[48:49]
	v_add_f64 v[48:49], v[48:49], v[44:45]
	v_add_f64 v[72:73], v[28:29], -v[60:61]
	v_add_f64 v[28:29], v[190:191], v[28:29]
	v_add_f64 v[180:181], v[50:51], v[36:37]
	;; [unrolled: 1-line block ×10, first 2 shown]
	v_add_f64 v[90:91], v[90:91], -v[2:3]
	v_add_f64 v[160:161], v[34:35], -v[42:43]
	v_add_f64 v[34:35], v[204:205], v[34:35]
	v_fma_f64 v[58:59], v[58:59], -0.5, v[103:104]
	v_fma_f64 v[30:31], v[30:31], -0.5, v[196:197]
	v_add_f64 v[154:155], v[38:39], -v[40:41]
	v_add_f64 v[164:165], v[46:47], -v[54:55]
	v_add_f64 v[38:39], v[202:203], v[38:39]
	v_add_f64 v[46:47], v[186:187], v[46:47]
	v_add_f64 v[109:110], v[50:51], -v[36:37]
	v_add_f64 v[24:25], v[24:25], -v[20:21]
	v_add_f64 v[50:51], v[200:201], v[50:51]
	v_add_f64 v[2:3], v[62:63], v[2:3]
	v_fma_f64 v[62:63], v[68:69], -0.5, v[107:108]
	v_fma_f64 v[68:69], v[74:75], -0.5, v[105:106]
	;; [unrolled: 1-line block ×4, first 2 shown]
	v_add_f64 v[26:27], v[26:27], -v[22:23]
	v_add_f64 v[20:21], v[70:71], v[20:21]
	v_add_f64 v[22:23], v[76:77], v[22:23]
	v_fma_f64 v[70:71], v[80:81], -0.5, v[101:102]
	v_fma_f64 v[76:77], v[111:112], -0.5, v[97:98]
	;; [unrolled: 1-line block ×3, first 2 shown]
	v_add_f64 v[4:5], v[4:5], -v[16:17]
	v_fma_f64 v[48:49], v[48:49], -0.5, v[198:199]
	v_add_f64 v[6:7], v[6:7], -v[18:19]
	v_add_f64 v[28:29], v[28:29], v[60:61]
	v_fma_f64 v[60:61], v[180:181], -0.5, v[200:201]
	v_add_f64 v[12:13], v[12:13], -v[8:9]
	v_add_f64 v[18:19], v[88:89], v[18:19]
	v_fma_f64 v[80:81], v[158:159], -0.5, v[93:94]
	v_fma_f64 v[88:89], v[182:183], -0.5, v[202:203]
	v_add_f64 v[166:167], v[93:94], v[14:15]
	v_add_f64 v[14:15], v[14:15], -v[10:11]
	v_fma_f64 v[93:94], v[184:185], -0.5, v[204:205]
	v_add_f64 v[16:17], v[82:83], v[16:17]
	v_fma_f64 v[82:83], v[162:163], -0.5, v[95:96]
	v_add_f64 v[172:173], v[95:96], v[0:1]
	v_add_f64 v[0:1], v[0:1], -v[52:53]
	v_fma_f64 v[95:96], v[194:195], -0.5, v[186:187]
	v_add_f64 v[8:9], v[152:153], v[8:9]
	v_add_f64 v[64:65], v[156:157], v[64:65]
	;; [unrolled: 1-line block ×3, first 2 shown]
	v_fma_f64 v[42:43], v[66:67], s[6:7], v[58:59]
	v_fma_f64 v[152:153], v[90:91], s[10:11], v[30:31]
	v_add_f64 v[38:39], v[38:39], v[40:41]
	v_add_f64 v[40:41], v[46:47], v[54:55]
	v_fma_f64 v[46:47], v[66:67], s[10:11], v[58:59]
	v_fma_f64 v[30:31], v[90:91], s[6:7], v[30:31]
	v_add_f64 v[36:37], v[50:51], v[36:37]
	v_fma_f64 v[50:51], v[72:73], s[6:7], v[62:63]
	v_fma_f64 v[90:91], v[24:25], s[10:11], v[86:87]
	;; [unrolled: 1-line block ×4, first 2 shown]
	v_add_f64 v[56:57], v[176:177], v[56:57]
	v_fma_f64 v[58:59], v[78:79], s[6:7], v[68:69]
	v_fma_f64 v[62:63], v[78:79], s[10:11], v[68:69]
	;; [unrolled: 1-line block ×10, first 2 shown]
	v_add_f64 v[44:45], v[178:179], v[44:45]
	v_fma_f64 v[156:157], v[4:5], s[10:11], v[48:49]
	v_fma_f64 v[48:49], v[4:5], s[6:7], v[48:49]
	;; [unrolled: 1-line block ×8, first 2 shown]
	v_add_f64 v[10:11], v[166:167], v[10:11]
	v_fma_f64 v[162:163], v[14:15], s[10:11], v[93:94]
	v_fma_f64 v[84:85], v[164:165], s[6:7], v[82:83]
	;; [unrolled: 1-line block ×4, first 2 shown]
	v_add_f64 v[52:53], v[172:173], v[52:53]
	v_fma_f64 v[166:167], v[0:1], s[10:11], v[95:96]
	v_fma_f64 v[172:173], v[0:1], s[6:7], v[95:96]
	ds_write2_b64 v228, v[2:3], v[42:43] offset1:8
	ds_write_b64 v228, v[46:47] offset:128
	ds_write2_b64 v231, v[20:21], v[50:51] offset1:8
	ds_write_b64 v231, v[54:55] offset:128
	ds_write2_b64 v232, v[22:23], v[58:59] offset1:8
	ds_write_b64 v232, v[62:63] offset:128
	ds_write2_b64 v233, v[16:17], v[66:67] offset1:8
	ds_write_b64 v233, v[68:69] offset:128
	ds_write2_b64 v234, v[18:19], v[70:71] offset1:8
	ds_write_b64 v234, v[72:73] offset:128
	ds_write2_b64 v235, v[8:9], v[74:75] offset1:8
	ds_write_b64 v235, v[76:77] offset:128
	ds_write2_b64 v236, v[10:11], v[78:79] offset1:8
	ds_write_b64 v236, v[80:81] offset:128
	ds_write2_b64 v237, v[52:53], v[84:85] offset1:8
	ds_write_b64 v237, v[82:83] offset:128
	s_waitcnt lgkmcnt(0)
	s_barrier
	buffer_gl0_inv
	ds_read_b64 v[104:105], v130
	ds_read_b64 v[102:103], v122
	;; [unrolled: 1-line block ×9, first 2 shown]
	ds_read_b64 v[110:111], v130 offset:11592
	ds_read2_b64 v[0:3], v134 offset0:177 offset1:240
	ds_read2_b64 v[24:27], v141 offset0:55 offset1:118
	;; [unrolled: 1-line block ×7, first 2 shown]
	s_waitcnt lgkmcnt(0)
	s_barrier
	buffer_gl0_inv
	ds_write2_b64 v228, v[64:65], v[152:153] offset1:8
	ds_write_b64 v228, v[30:31] offset:128
	ds_write2_b64 v231, v[28:29], v[90:91] offset1:8
	ds_write_b64 v231, v[86:87] offset:128
	;; [unrolled: 2-line block ×8, first 2 shown]
	s_waitcnt lgkmcnt(0)
	s_barrier
	buffer_gl0_inv
	s_clause 0x3
	global_load_dwordx4 v[84:87], v238, s[8:9] offset:352
	global_load_dwordx4 v[68:71], v238, s[8:9] offset:368
	;; [unrolled: 1-line block ×4, first 2 shown]
	v_mul_lo_u16 v37, v146, 24
	v_sub_nc_u16 v153, v116, v229
	v_sub_nc_u16 v154, v192, v230
	v_mul_lo_u16 v50, v147, 24
	v_lshlrev_b32_sdwa v28, v123, v149 dst_sel:DWORD dst_unused:UNUSED_PAD src0_sel:DWORD src1_sel:BYTE_0
	v_sub_nc_u16 v155, v114, v37
	v_lshlrev_b32_sdwa v36, v123, v150 dst_sel:DWORD dst_unused:UNUSED_PAD src0_sel:DWORD src1_sel:WORD_0
	v_lshlrev_b32_sdwa v48, v123, v153 dst_sel:DWORD dst_unused:UNUSED_PAD src0_sel:DWORD src1_sel:WORD_0
	v_lshlrev_b32_sdwa v49, v123, v154 dst_sel:DWORD dst_unused:UNUSED_PAD src0_sel:DWORD src1_sel:BYTE_0
	v_sub_nc_u16 v156, v117, v50
	v_lshlrev_b32_sdwa v51, v123, v155 dst_sel:DWORD dst_unused:UNUSED_PAD src0_sel:DWORD src1_sel:WORD_0
	s_clause 0x7
	global_load_dwordx4 v[32:35], v28, s[8:9] offset:352
	global_load_dwordx4 v[40:43], v36, s[8:9] offset:352
	global_load_dwordx4 v[28:31], v28, s[8:9] offset:368
	global_load_dwordx4 v[36:39], v36, s[8:9] offset:368
	global_load_dwordx4 v[44:47], v48, s[8:9] offset:352
	global_load_dwordx4 v[72:75], v49, s[8:9] offset:368
	global_load_dwordx4 v[80:83], v49, s[8:9] offset:352
	global_load_dwordx4 v[56:59], v51, s[8:9] offset:352
	v_lshlrev_b32_sdwa v88, v123, v156 dst_sel:DWORD dst_unused:UNUSED_PAD src0_sel:DWORD src1_sel:WORD_0
	s_clause 0x3
	global_load_dwordx4 v[52:55], v48, s[8:9] offset:368
	global_load_dwordx4 v[48:51], v51, s[8:9] offset:368
	global_load_dwordx4 v[64:67], v88, s[8:9] offset:352
	global_load_dwordx4 v[88:91], v88, s[8:9] offset:368
	v_add_nc_u32_e32 v157, -9, v192
	v_mov_b32_e32 v93, 0
	v_mov_b32_e32 v158, 0x240
	;; [unrolled: 1-line block ×4, first 2 shown]
	v_cndmask_b32_e64 v157, v157, v128, s0
	v_lshlrev_b64 v[162:163], 4, v[92:93]
	v_mul_u32_u24_sdwa v151, v151, v158 dst_sel:DWORD dst_unused:UNUSED_PAD src0_sel:WORD_0 src1_sel:DWORD
	v_mul_u32_u24_sdwa v127, v127, v158 dst_sel:DWORD dst_unused:UNUSED_PAD src0_sel:WORD_0 src1_sel:DWORD
	v_lshlrev_b32_sdwa v124, v152, v124 dst_sel:DWORD dst_unused:UNUSED_PAD src0_sel:DWORD src1_sel:BYTE_0
	v_lshlrev_b32_e32 v92, 1, v157
	v_mul_u32_u24_sdwa v160, v115, v159 dst_sel:DWORD dst_unused:UNUSED_PAD src0_sel:WORD_0 src1_sel:DWORD
	v_add_co_u32 v166, s0, s8, v162
	v_mul_u32_u24_sdwa v162, v142, v158 dst_sel:DWORD dst_unused:UNUSED_PAD src0_sel:WORD_0 src1_sel:DWORD
	v_mul_u32_u24_sdwa v158, v143, v158 dst_sel:DWORD dst_unused:UNUSED_PAD src0_sel:WORD_0 src1_sel:DWORD
	v_lshlrev_b64 v[142:143], 4, v[92:93]
	v_add_co_ci_u32_e64 v167, s0, s9, v163, s0
	v_add3_u32 v124, 0, v127, v124
	v_mul_u32_u24_sdwa v161, v116, v159 dst_sel:DWORD dst_unused:UNUSED_PAD src0_sel:WORD_0 src1_sel:DWORD
	v_mul_u32_u24_sdwa v164, v114, v159 dst_sel:DWORD dst_unused:UNUSED_PAD src0_sel:WORD_0 src1_sel:DWORD
	v_add_co_u32 v184, s0, s8, v142
	v_add_co_ci_u32_e64 v185, s0, s9, v143, s0
	v_lshlrev_b32_sdwa v142, v152, v154 dst_sel:DWORD dst_unused:UNUSED_PAD src0_sel:DWORD src1_sel:BYTE_0
	v_lshlrev_b32_sdwa v143, v152, v148 dst_sel:DWORD dst_unused:UNUSED_PAD src0_sel:DWORD src1_sel:BYTE_0
	;; [unrolled: 1-line block ×3, first 2 shown]
	v_lshlrev_b32_sdwa v149, v152, v150 dst_sel:DWORD dst_unused:UNUSED_PAD src0_sel:DWORD src1_sel:WORD_0
	v_lshlrev_b32_sdwa v150, v152, v153 dst_sel:DWORD dst_unused:UNUSED_PAD src0_sel:DWORD src1_sel:WORD_0
	v_add3_u32 v230, 0, v151, v142
	v_add3_u32 v127, 0, v162, v143
	v_mul_u32_u24_sdwa v165, v117, v159 dst_sel:DWORD dst_unused:UNUSED_PAD src0_sel:WORD_0 src1_sel:DWORD
	v_add3_u32 v231, 0, v144, v149
	v_add3_u32 v232, 0, v145, v150
	ds_read2_b64 v[142:145], v141 offset0:55 offset1:118
	v_lshrrev_b32_e32 v159, 22, v160
	v_lshrrev_b32_e32 v160, 22, v161
	;; [unrolled: 1-line block ×4, first 2 shown]
	v_mul_u32_u24_e32 v146, 0x240, v146
	v_mul_u32_u24_e32 v147, 0x240, v147
	v_mul_lo_u16 v163, 0x48, v125
	v_mul_lo_u16 v165, 0x48, v159
	;; [unrolled: 1-line block ×4, first 2 shown]
	v_lshlrev_b32_sdwa v153, v152, v155 dst_sel:DWORD dst_unused:UNUSED_PAD src0_sel:DWORD src1_sel:WORD_0
	v_lshlrev_b32_sdwa v154, v152, v156 dst_sel:DWORD dst_unused:UNUSED_PAD src0_sel:DWORD src1_sel:WORD_0
	v_sub_nc_u16 v92, v129, v163
	v_sub_nc_u16 v115, v115, v165
	;; [unrolled: 1-line block ×4, first 2 shown]
	v_add3_u32 v158, 0, v158, v148
	v_add3_u32 v233, 0, v146, v153
	;; [unrolled: 1-line block ×3, first 2 shown]
	ds_read2_b64 v[146:149], v136 offset0:47 offset1:110
	ds_read2_b64 v[153:156], v141 offset0:181 offset1:244
	;; [unrolled: 1-line block ×6, first 2 shown]
	ds_read_b64 v[150:151], v119
	ds_read_b64 v[186:187], v118
	;; [unrolled: 1-line block ×4, first 2 shown]
	ds_read_b64 v[194:195], v130 offset:11592
	ds_read_b64 v[196:197], v130
	ds_read_b64 v[198:199], v122
	;; [unrolled: 1-line block ×5, first 2 shown]
	v_mul_lo_u16 v93, 0x48, v126
	v_mul_lo_u16 v228, 0x48, v161
	s_waitcnt vmcnt(0) lgkmcnt(0)
	s_barrier
	buffer_gl0_inv
	v_sub_nc_u16 v93, v193, v93
	v_lshlrev_b32_sdwa v229, v123, v92 dst_sel:DWORD dst_unused:UNUSED_PAD src0_sel:DWORD src1_sel:BYTE_0
	v_cmp_lt_u32_e64 s0, 8, v192
	v_mul_f64 v[206:207], v[142:143], v[86:87]
	v_mul_f64 v[86:87], v[24:25], v[86:87]
	;; [unrolled: 1-line block ×16, first 2 shown]
	v_fma_f64 v[24:25], v[24:25], v[84:85], v[206:207]
	v_fma_f64 v[84:85], v[142:143], v[84:85], -v[86:87]
	v_mul_f64 v[86:87], v[174:175], v[58:59]
	v_fma_f64 v[26:27], v[26:27], v[76:77], v[208:209]
	v_fma_f64 v[76:77], v[144:145], v[76:77], -v[78:79]
	v_mul_f64 v[78:79], v[178:179], v[50:51]
	v_mul_f64 v[30:31], v[12:13], v[30:31]
	;; [unrolled: 1-line block ×7, first 2 shown]
	v_fma_f64 v[20:21], v[20:21], v[68:69], v[210:211]
	v_fma_f64 v[68:69], v[146:147], v[68:69], -v[70:71]
	v_mul_f64 v[70:71], v[194:195], v[90:91]
	v_mul_f64 v[34:35], v[16:17], v[34:35]
	;; [unrolled: 1-line block ×8, first 2 shown]
	v_fma_f64 v[22:23], v[22:23], v[60:61], v[212:213]
	v_fma_f64 v[60:61], v[148:149], v[60:61], -v[62:63]
	v_fma_f64 v[2:3], v[2:3], v[72:73], v[224:225]
	v_fma_f64 v[62:63], v[112:113], v[80:81], v[226:227]
	;; [unrolled: 1-line block ×3, first 2 shown]
	v_fma_f64 v[72:73], v[182:183], v[72:73], -v[74:75]
	v_fma_f64 v[74:75], v[150:151], v[80:81], -v[82:83]
	v_fma_f64 v[18:19], v[18:19], v[40:41], v[216:217]
	v_fma_f64 v[12:13], v[12:13], v[28:29], v[218:219]
	v_fma_f64 v[14:15], v[14:15], v[36:37], v[220:221]
	v_fma_f64 v[10:11], v[10:11], v[56:57], v[86:87]
	v_fma_f64 v[6:7], v[6:7], v[48:49], v[78:79]
	v_fma_f64 v[28:29], v[162:163], v[28:29], -v[30:31]
	v_fma_f64 v[30:31], v[164:165], v[36:37], -v[38:39]
	v_fma_f64 v[8:9], v[8:9], v[44:45], v[222:223]
	v_fma_f64 v[36:37], v[172:173], v[44:45], -v[46:47]
	v_fma_f64 v[4:5], v[4:5], v[52:53], v[142:143]
	v_fma_f64 v[0:1], v[0:1], v[64:65], v[144:145]
	;; [unrolled: 1-line block ×3, first 2 shown]
	v_fma_f64 v[32:33], v[153:154], v[32:33], -v[34:35]
	v_fma_f64 v[34:35], v[155:156], v[40:41], -v[42:43]
	v_fma_f64 v[40:41], v[176:177], v[52:53], -v[54:55]
	v_fma_f64 v[38:39], v[174:175], v[56:57], -v[58:59]
	v_fma_f64 v[42:43], v[178:179], v[48:49], -v[50:51]
	v_fma_f64 v[44:45], v[180:181], v[64:65], -v[66:67]
	v_fma_f64 v[48:49], v[194:195], v[88:89], -v[90:91]
	v_add_f64 v[50:51], v[62:63], v[2:3]
	v_add_f64 v[52:53], v[104:105], v[62:63]
	;; [unrolled: 1-line block ×3, first 2 shown]
	v_add_f64 v[54:55], v[74:75], -v[72:73]
	v_add_f64 v[58:59], v[108:109], v[24:25]
	v_add_f64 v[66:67], v[26:27], v[22:23]
	;; [unrolled: 1-line block ×12, first 2 shown]
	v_add_f64 v[78:79], v[76:77], -v[60:61]
	v_add_f64 v[174:175], v[188:189], v[76:77]
	v_add_f64 v[76:77], v[76:77], v[60:61]
	v_add_f64 v[64:65], v[84:85], -v[68:69]
	v_add_f64 v[84:85], v[190:191], v[84:85]
	v_add_f64 v[176:177], v[32:33], v[28:29]
	;; [unrolled: 1-line block ×7, first 2 shown]
	v_add_f64 v[86:87], v[32:33], -v[28:29]
	v_add_f64 v[32:33], v[198:199], v[32:33]
	v_fma_f64 v[50:51], v[50:51], -0.5, v[104:105]
	v_add_f64 v[110:111], v[34:35], -v[30:31]
	v_add_f64 v[34:35], v[200:201], v[34:35]
	v_add_f64 v[62:63], v[62:63], -v[2:3]
	v_add_f64 v[2:3], v[52:53], v[2:3]
	v_fma_f64 v[52:53], v[56:57], -0.5, v[108:109]
	v_add_f64 v[144:145], v[36:37], -v[40:41]
	v_add_f64 v[150:151], v[38:39], -v[42:43]
	v_add_f64 v[24:25], v[24:25], -v[20:21]
	v_add_f64 v[36:37], v[202:203], v[36:37]
	v_add_f64 v[20:21], v[58:59], v[20:21]
	v_fma_f64 v[56:57], v[66:67], -0.5, v[106:107]
	v_fma_f64 v[58:59], v[80:81], -0.5, v[102:103]
	;; [unrolled: 1-line block ×5, first 2 shown]
	v_add_f64 v[38:39], v[204:205], v[38:39]
	v_add_f64 v[162:163], v[44:45], -v[48:49]
	v_add_f64 v[44:45], v[186:187], v[44:45]
	v_fma_f64 v[88:89], v[172:173], -0.5, v[190:191]
	v_add_f64 v[26:27], v[26:27], -v[22:23]
	v_add_f64 v[16:17], v[16:17], -v[12:13]
	v_add_f64 v[22:23], v[70:71], v[22:23]
	v_add_f64 v[12:13], v[82:83], v[12:13]
	v_fma_f64 v[70:71], v[112:113], -0.5, v[98:99]
	v_fma_f64 v[82:83], v[155:156], -0.5, v[94:95]
	;; [unrolled: 1-line block ×3, first 2 shown]
	v_add_f64 v[142:143], v[98:99], v[8:9]
	v_add_f64 v[68:69], v[84:85], v[68:69]
	v_fma_f64 v[84:85], v[176:177], -0.5, v[198:199]
	v_add_f64 v[148:149], v[96:97], v[10:11]
	v_add_f64 v[18:19], v[18:19], -v[14:15]
	v_add_f64 v[14:15], v[90:91], v[14:15]
	v_fma_f64 v[90:91], v[178:179], -0.5, v[200:201]
	v_add_f64 v[164:165], v[94:95], v[0:1]
	v_add_f64 v[8:9], v[8:9], -v[4:5]
	v_fma_f64 v[94:95], v[180:181], -0.5, v[202:203]
	v_add_f64 v[10:11], v[10:11], -v[6:7]
	v_fma_f64 v[96:97], v[182:183], -0.5, v[204:205]
	;; [unrolled: 2-line block ×3, first 2 shown]
	v_add_f64 v[100:101], v[32:33], v[28:29]
	v_fma_f64 v[28:29], v[54:55], s[6:7], v[50:51]
	v_add_f64 v[102:103], v[34:35], v[30:31]
	v_fma_f64 v[30:31], v[54:55], s[10:11], v[50:51]
	v_fma_f64 v[32:33], v[64:65], s[6:7], v[52:53]
	;; [unrolled: 1-line block ×3, first 2 shown]
	v_add_f64 v[72:73], v[153:154], v[72:73]
	v_add_f64 v[40:41], v[36:37], v[40:41]
	v_fma_f64 v[36:37], v[78:79], s[6:7], v[56:57]
	v_fma_f64 v[52:53], v[110:111], s[6:7], v[66:67]
	;; [unrolled: 1-line block ×6, first 2 shown]
	v_add_f64 v[42:43], v[38:39], v[42:43]
	v_fma_f64 v[38:39], v[78:79], s[10:11], v[56:57]
	v_fma_f64 v[62:63], v[62:63], s[6:7], v[74:75]
	v_add_f64 v[44:45], v[44:45], v[48:49]
	v_fma_f64 v[48:49], v[86:87], s[6:7], v[58:59]
	v_fma_f64 v[74:75], v[24:25], s[10:11], v[88:89]
	;; [unrolled: 1-line block ×8, first 2 shown]
	v_add_f64 v[60:61], v[174:175], v[60:61]
	v_fma_f64 v[86:87], v[26:27], s[10:11], v[76:77]
	v_fma_f64 v[76:77], v[26:27], s[6:7], v[76:77]
	v_add_f64 v[4:5], v[142:143], v[4:5]
	v_fma_f64 v[88:89], v[16:17], s[10:11], v[84:85]
	v_fma_f64 v[16:17], v[16:17], s[6:7], v[84:85]
	v_add_f64 v[6:7], v[148:149], v[6:7]
	v_fma_f64 v[84:85], v[18:19], s[10:11], v[90:91]
	v_fma_f64 v[18:19], v[18:19], s[6:7], v[90:91]
	v_add_f64 v[46:47], v[164:165], v[46:47]
	v_fma_f64 v[90:91], v[8:9], s[10:11], v[94:95]
	v_fma_f64 v[94:95], v[8:9], s[6:7], v[94:95]
	v_fma_f64 v[104:105], v[10:11], s[10:11], v[96:97]
	v_fma_f64 v[96:97], v[10:11], s[6:7], v[96:97]
	;; [unrolled: 1-line block ×4, first 2 shown]
	ds_write2_b64 v230, v[2:3], v[28:29] offset1:24
	ds_write_b64 v230, v[30:31] offset:384
	ds_write2_b64 v124, v[20:21], v[32:33] offset1:24
	ds_write_b64 v124, v[34:35] offset:384
	;; [unrolled: 2-line block ×8, first 2 shown]
	v_and_b32_e32 v13, 0xffff, v117
	s_waitcnt lgkmcnt(0)
	s_barrier
	buffer_gl0_inv
	ds_read_b64 v[194:195], v130
	ds_read_b64 v[196:197], v122
	;; [unrolled: 1-line block ×9, first 2 shown]
	ds_read_b64 v[210:211], v130 offset:11592
	ds_read2_b64 v[0:3], v134 offset0:177 offset1:240
	ds_read2_b64 v[4:7], v141 offset0:55 offset1:118
	ds_read2_b64 v[8:11], v136 offset0:47 offset1:110
	ds_read2_b64 v[24:27], v141 offset0:181 offset1:244
	ds_read2_b64 v[28:31], v136 offset0:173 offset1:236
	ds_read2_b64 v[32:35], v134 offset0:51 offset1:114
	ds_read2_b64 v[36:39], v137 offset0:43 offset1:106
	s_waitcnt lgkmcnt(0)
	s_barrier
	buffer_gl0_inv
	ds_write2_b64 v230, v[72:73], v[80:81] offset1:24
	ds_write_b64 v230, v[62:63] offset:384
	ds_write2_b64 v124, v[68:69], v[74:75] offset1:24
	ds_write_b64 v124, v[82:83] offset:384
	;; [unrolled: 2-line block ×8, first 2 shown]
	s_waitcnt lgkmcnt(0)
	s_barrier
	buffer_gl0_inv
	s_clause 0x1
	global_load_dwordx4 v[20:23], v[184:185], off offset:1120
	global_load_dwordx4 v[48:51], v229, s[8:9] offset:1136
	v_lshlrev_b32_sdwa v12, v123, v93 dst_sel:DWORD dst_unused:UNUSED_PAD src0_sel:DWORD src1_sel:BYTE_0
	v_lshlrev_b32_sdwa v14, v123, v115 dst_sel:DWORD dst_unused:UNUSED_PAD src0_sel:DWORD src1_sel:WORD_0
	v_sub_nc_u16 v15, v114, v228
	v_lshlrev_b32_e32 v16, 5, v13
	s_clause 0x4
	global_load_dwordx4 v[44:47], v[184:185], off offset:1136
	global_load_dwordx4 v[40:43], v229, s[8:9] offset:1120
	global_load_dwordx4 v[56:59], v14, s[8:9] offset:1120
	;; [unrolled: 1-line block ×4, first 2 shown]
	v_lshlrev_b32_sdwa v17, v123, v116 dst_sel:DWORD dst_unused:UNUSED_PAD src0_sel:DWORD src1_sel:WORD_0
	v_lshlrev_b32_sdwa v12, v123, v15 dst_sel:DWORD dst_unused:UNUSED_PAD src0_sel:DWORD src1_sel:WORD_0
	s_clause 0x8
	global_load_dwordx4 v[64:67], v[166:167], off offset:1136
	global_load_dwordx4 v[60:63], v16, s[8:9] offset:1120
	global_load_dwordx4 v[70:73], v16, s[8:9] offset:1136
	global_load_dwordx4 v[96:99], v[166:167], off offset:1120
	global_load_dwordx4 v[153:156], v14, s[8:9] offset:1136
	global_load_dwordx4 v[162:165], v17, s[8:9] offset:1120
	;; [unrolled: 1-line block ×5, first 2 shown]
	v_cndmask_b32_e64 v12, 0, 0x6c0, s0
	v_lshlrev_b32_e32 v14, 3, v157
	v_mov_b32_e32 v16, 0x6c0
	v_mul_u32_u24_e32 v17, 0x6c0, v160
	v_mul_u32_u24_e32 v18, 0x6c0, v161
	v_lshlrev_b32_sdwa v19, v152, v92 dst_sel:DWORD dst_unused:UNUSED_PAD src0_sel:DWORD src1_sel:BYTE_0
	v_add3_u32 v143, 0, v12, v14
	v_mul_u32_u24_sdwa v12, v125, v16 dst_sel:DWORD dst_unused:UNUSED_PAD src0_sel:WORD_0 src1_sel:DWORD
	v_mul_u32_u24_sdwa v14, v126, v16 dst_sel:DWORD dst_unused:UNUSED_PAD src0_sel:WORD_0 src1_sel:DWORD
	v_mul_u32_u24_e32 v16, 0x6c0, v159
	v_lshlrev_b32_sdwa v68, v152, v93 dst_sel:DWORD dst_unused:UNUSED_PAD src0_sel:DWORD src1_sel:BYTE_0
	v_lshlrev_b32_sdwa v69, v152, v115 dst_sel:DWORD dst_unused:UNUSED_PAD src0_sel:DWORD src1_sel:WORD_0
	v_lshlrev_b32_sdwa v74, v152, v116 dst_sel:DWORD dst_unused:UNUSED_PAD src0_sel:DWORD src1_sel:WORD_0
	;; [unrolled: 1-line block ×3, first 2 shown]
	ds_read2_b64 v[104:107], v141 offset0:55 offset1:118
	ds_read2_b64 v[108:111], v136 offset0:47 offset1:110
	v_add3_u32 v148, 0, v12, v19
	v_add3_u32 v145, 0, v14, v68
	v_lshl_add_u32 v144, v13, 3, 0
	v_add3_u32 v149, 0, v16, v69
	v_add3_u32 v146, 0, v17, v74
	;; [unrolled: 1-line block ×3, first 2 shown]
	ds_read2_b64 v[114:117], v141 offset0:181 offset1:244
	ds_read2_b64 v[123:126], v136 offset0:173 offset1:236
	;; [unrolled: 1-line block ×5, first 2 shown]
	ds_read_b64 v[90:91], v130 offset:11592
	ds_read_b64 v[151:152], v119
	ds_read_b64 v[12:13], v118
	;; [unrolled: 1-line block ×5, first 2 shown]
	v_add_nc_u32_e32 v142, 0x800, v130
	v_add_nc_u32_e32 v150, 0x2800, v144
	v_cmp_gt_u32_e64 s0, 27, v192
	s_waitcnt vmcnt(15) lgkmcnt(12)
	v_mul_f64 v[68:69], v[104:105], v[22:23]
	v_mul_f64 v[22:23], v[4:5], v[22:23]
	s_waitcnt vmcnt(14) lgkmcnt(11)
	v_mul_f64 v[80:81], v[110:111], v[50:51]
	v_mul_f64 v[50:51], v[10:11], v[50:51]
	;; [unrolled: 3-line block ×3, first 2 shown]
	v_mul_f64 v[74:75], v[106:107], v[42:43]
	s_waitcnt vmcnt(5) lgkmcnt(4)
	v_mul_f64 v[212:213], v[151:152], v[98:99]
	v_mul_f64 v[82:83], v[114:115], v[54:55]
	;; [unrolled: 1-line block ×4, first 2 shown]
	s_waitcnt vmcnt(4)
	v_mul_f64 v[214:215], v[125:126], v[155:156]
	s_waitcnt vmcnt(3)
	v_mul_f64 v[216:217], v[157:158], v[164:165]
	s_waitcnt vmcnt(1)
	v_mul_f64 v[220:221], v[184:185], v[178:179]
	v_mul_f64 v[118:119], v[188:189], v[62:63]
	v_mul_f64 v[166:167], v[90:91], v[72:73]
	v_mul_f64 v[218:219], v[159:160], v[174:175]
	v_mul_f64 v[222:223], v[0:1], v[62:63]
	v_mul_f64 v[72:73], v[210:211], v[72:73]
	s_waitcnt vmcnt(0)
	v_mul_f64 v[224:225], v[186:187], v[182:183]
	v_mul_f64 v[226:227], v[2:3], v[66:67]
	;; [unrolled: 1-line block ×3, first 2 shown]
	v_fma_f64 v[100:101], v[104:105], v[20:21], -v[22:23]
	v_mul_f64 v[46:47], v[8:9], v[46:47]
	v_fma_f64 v[78:79], v[4:5], v[20:21], v[68:69]
	v_mul_f64 v[42:43], v[6:7], v[42:43]
	v_fma_f64 v[104:105], v[2:3], v[64:65], v[102:103]
	v_fma_f64 v[92:93], v[8:9], v[44:45], v[76:77]
	;; [unrolled: 1-line block ×5, first 2 shown]
	v_mul_f64 v[54:55], v[24:25], v[54:55]
	v_mul_f64 v[88:89], v[28:29], v[88:89]
	v_fma_f64 v[74:75], v[24:25], v[52:53], v[82:83]
	v_fma_f64 v[66:67], v[26:27], v[56:57], v[84:85]
	;; [unrolled: 1-line block ×3, first 2 shown]
	v_mul_f64 v[58:59], v[26:27], v[58:59]
	v_mul_f64 v[155:156], v[30:31], v[155:156]
	v_fma_f64 v[82:83], v[30:31], v[153:154], v[214:215]
	v_mul_f64 v[164:165], v[32:33], v[164:165]
	v_mul_f64 v[178:179], v[36:37], v[178:179]
	v_fma_f64 v[76:77], v[32:33], v[162:163], v[216:217]
	v_fma_f64 v[94:95], v[36:37], v[176:177], v[220:221]
	v_mul_f64 v[174:175], v[34:35], v[174:175]
	v_mul_f64 v[182:183], v[38:39], v[182:183]
	v_fma_f64 v[20:21], v[0:1], v[60:61], v[118:119]
	v_fma_f64 v[68:69], v[34:35], v[172:173], v[218:219]
	v_fma_f64 v[102:103], v[188:189], v[60:61], -v[222:223]
	v_fma_f64 v[60:61], v[90:91], v[70:71], -v[72:73]
	v_fma_f64 v[90:91], v[38:39], v[180:181], v[224:225]
	v_fma_f64 v[22:23], v[210:211], v[70:71], v[166:167]
	v_fma_f64 v[64:65], v[190:191], v[64:65], -v[226:227]
	v_fma_f64 v[118:119], v[151:152], v[96:97], -v[98:99]
	v_add_f64 v[2:3], v[112:113], v[104:105]
	v_fma_f64 v[70:71], v[108:109], v[44:45], -v[46:47]
	v_add_f64 v[4:5], v[78:79], v[92:93]
	v_fma_f64 v[106:107], v[106:107], v[40:41], -v[42:43]
	v_fma_f64 v[72:73], v[110:111], v[48:49], -v[50:51]
	v_add_f64 v[6:7], v[62:63], v[80:81]
	v_fma_f64 v[108:109], v[114:115], v[52:53], -v[54:55]
	;; [unrolled: 3-line block ×5, first 2 shown]
	v_fma_f64 v[98:99], v[186:187], v[180:181], -v[182:183]
	v_add_f64 v[28:29], v[194:195], v[112:113]
	v_add_f64 v[30:31], v[68:69], v[90:91]
	;; [unrolled: 1-line block ×4, first 2 shown]
	v_add_f64 v[32:33], v[118:119], -v[64:65]
	v_fma_f64 v[2:3], v[2:3], -0.5, v[194:195]
	v_add_f64 v[34:35], v[208:209], v[78:79]
	v_add_f64 v[50:51], v[100:101], -v[70:71]
	v_fma_f64 v[4:5], v[4:5], -0.5, v[208:209]
	v_add_f64 v[36:37], v[206:207], v[62:63]
	;; [unrolled: 3-line block ×6, first 2 shown]
	v_add_f64 v[123:124], v[116:117], -v[98:99]
	v_fma_f64 v[30:31], v[30:31], -0.5, v[202:203]
	v_add_f64 v[24:25], v[102:103], -v[60:61]
	v_fma_f64 v[48:49], v[0:1], -0.5, v[204:205]
	v_add_f64 v[28:29], v[28:29], v[104:105]
	v_add_f64 v[172:173], v[46:47], v[22:23]
	v_fma_f64 v[46:47], v[32:33], s[6:7], v[2:3]
	v_fma_f64 v[32:33], v[32:33], s[10:11], v[2:3]
	v_add_f64 v[34:35], v[34:35], v[92:93]
	v_fma_f64 v[151:152], v[50:51], s[6:7], v[4:5]
	v_fma_f64 v[4:5], v[50:51], s[10:11], v[4:5]
	;; [unrolled: 3-line block ×7, first 2 shown]
	v_fma_f64 v[0:1], v[24:25], s[6:7], v[48:49]
	v_fma_f64 v[2:3], v[24:25], s[10:11], v[48:49]
	ds_read_b64 v[126:127], v122
	ds_read_b64 v[124:125], v120
	;; [unrolled: 1-line block ×4, first 2 shown]
	s_waitcnt lgkmcnt(0)
	s_barrier
	buffer_gl0_inv
	ds_write2_b64 v130, v[28:29], v[46:47] offset1:72
	ds_write_b64 v130, v[32:33] offset:1152
	ds_write2_b64 v143, v[34:35], v[151:152] offset1:72
	ds_write_b64 v143, v[4:5] offset:1152
	;; [unrolled: 2-line block ×7, first 2 shown]
	ds_write2_b64 v150, v[172:173], v[0:1] offset0:16 offset1:88
	ds_write_b64 v144, v[2:3] offset:11520
	s_waitcnt lgkmcnt(0)
	s_barrier
	buffer_gl0_inv
	ds_read2_b64 v[24:27], v130 offset1:216
	ds_read2_b64 v[28:31], v142 offset0:176 offset1:239
	ds_read_b64 v[178:179], v132
	ds_read_b64 v[176:177], v131
	ds_read_b64 v[180:181], v130 offset:11376
	ds_read2_b64 v[52:55], v141 offset0:46 offset1:136
	ds_read2_b64 v[32:35], v134 offset0:96 offset1:159
	;; [unrolled: 1-line block ×7, first 2 shown]
	v_sub_nc_u32_e32 v4, 0, v139
                                        ; implicit-def: $vgpr10_vgpr11
                                        ; implicit-def: $vgpr6_vgpr7
	v_add_nc_u32_e32 v138, v138, v4
	s_and_saveexec_b32 s1, s0
	s_cbranch_execz .LBB0_15
; %bb.14:
	v_add_nc_u32_e32 v0, 0xc00, v130
	v_add_nc_u32_e32 v4, 0x1a00, v130
	;; [unrolled: 1-line block ×3, first 2 shown]
	ds_read_b64 v[172:173], v138
	ds_read2_b64 v[0:3], v0 offset0:21 offset1:237
	ds_read2_b64 v[4:7], v4 offset0:5 offset1:221
	;; [unrolled: 1-line block ×3, first 2 shown]
.LBB0_15:
	s_or_b32 exec_lo, exec_lo, s1
	v_add_f64 v[139:140], v[118:119], v[64:65]
	v_add_f64 v[151:152], v[100:101], v[70:71]
	;; [unrolled: 1-line block ×6, first 2 shown]
	v_add_f64 v[104:105], v[112:113], -v[104:105]
	v_add_f64 v[112:113], v[116:117], v[98:99]
	v_add_f64 v[161:162], v[102:103], v[60:61]
	;; [unrolled: 1-line block ×5, first 2 shown]
	v_add_f64 v[78:79], v[78:79], -v[92:93]
	v_add_f64 v[92:93], v[14:15], v[106:107]
	v_add_f64 v[106:107], v[126:127], v[108:109]
	;; [unrolled: 1-line block ×4, first 2 shown]
	v_add_f64 v[62:63], v[62:63], -v[80:81]
	v_add_f64 v[114:115], v[120:121], v[116:117]
	v_add_f64 v[74:75], v[74:75], -v[84:85]
	v_add_f64 v[66:67], v[66:67], -v[82:83]
	;; [unrolled: 1-line block ×3, first 2 shown]
	v_fma_f64 v[18:19], v[139:140], -0.5, v[18:19]
	v_fma_f64 v[16:17], v[151:152], -0.5, v[16:17]
	;; [unrolled: 1-line block ×6, first 2 shown]
	v_add_f64 v[68:69], v[68:69], -v[90:91]
	v_add_f64 v[20:21], v[20:21], -v[22:23]
	v_fma_f64 v[22:23], v[112:113], -0.5, v[120:121]
	v_fma_f64 v[90:91], v[161:162], -0.5, v[12:13]
	v_add_f64 v[64:65], v[118:119], v[64:65]
	v_add_f64 v[174:175], v[102:103], v[60:61]
	;; [unrolled: 1-line block ×7, first 2 shown]
	s_waitcnt lgkmcnt(0)
	v_add_f64 v[94:95], v[114:115], v[98:99]
	s_barrier
	buffer_gl0_inv
	v_fma_f64 v[60:61], v[104:105], s[10:11], v[18:19]
	v_fma_f64 v[18:19], v[104:105], s[6:7], v[18:19]
	;; [unrolled: 1-line block ×16, first 2 shown]
	ds_write2_b64 v130, v[64:65], v[60:61] offset1:72
	ds_write_b64 v130, v[18:19] offset:1152
	ds_write2_b64 v143, v[70:71], v[96:97] offset1:72
	ds_write_b64 v143, v[16:17] offset:1152
	ds_write2_b64 v148, v[72:73], v[78:79] offset1:72
	ds_write_b64 v148, v[62:63] offset:1152
	ds_write2_b64 v145, v[86:87], v[98:99] offset1:72
	ds_write_b64 v145, v[74:75] offset:1152
	ds_write2_b64 v149, v[88:89], v[80:81] offset1:72
	ds_write_b64 v149, v[66:67] offset:1152
	ds_write2_b64 v146, v[92:93], v[82:83] offset1:72
	ds_write_b64 v146, v[76:77] offset:1152
	ds_write2_b64 v147, v[94:95], v[84:85] offset1:72
	ds_write_b64 v147, v[22:23] offset:1152
	ds_write2_b64 v150, v[174:175], v[12:13] offset0:16 offset1:88
	ds_write_b64 v144, v[14:15] offset:11520
	s_waitcnt lgkmcnt(0)
	s_barrier
	buffer_gl0_inv
	ds_read2_b64 v[60:63], v130 offset1:216
	ds_read2_b64 v[64:67], v142 offset0:176 offset1:239
	ds_read2_b64 v[88:91], v141 offset0:46 offset1:136
	;; [unrolled: 1-line block ×8, first 2 shown]
	ds_read_b64 v[184:185], v132
	ds_read_b64 v[182:183], v131
	ds_read_b64 v[188:189], v130 offset:11376
                                        ; implicit-def: $vgpr22_vgpr23
                                        ; implicit-def: $vgpr18_vgpr19
	s_and_saveexec_b32 s1, s0
	s_cbranch_execz .LBB0_17
; %bb.16:
	v_add_nc_u32_e32 v12, 0xc00, v130
	v_add_nc_u32_e32 v16, 0x1a00, v130
	;; [unrolled: 1-line block ×3, first 2 shown]
	ds_read_b64 v[174:175], v138
	ds_read2_b64 v[12:15], v12 offset0:21 offset1:237
	ds_read2_b64 v[16:19], v16 offset0:5 offset1:221
	;; [unrolled: 1-line block ×3, first 2 shown]
.LBB0_17:
	s_or_b32 exec_lo, exec_lo, s1
	s_and_saveexec_b32 s1, vcc_lo
	s_cbranch_execz .LBB0_20
; %bb.18:
	v_mul_i32_i24_e32 v186, 6, v129
	v_mov_b32_e32 v187, 0
	v_mul_u32_u24_e32 v98, 6, v192
	v_lshrrev_b32_e32 v194, 3, v192
	v_add_nc_u32_e32 v191, 63, v192
	v_mul_lo_u32 v190, s4, v171
	v_lshlrev_b64 v[96:97], 4, v[186:187]
	v_lshlrev_b32_e32 v98, 4, v98
	v_mul_i32_i24_e32 v186, 6, v128
	v_mul_hi_u32 v194, 0x97b425f, v194
	v_lshrrev_b32_e32 v195, 3, v191
	v_lshlrev_b64 v[168:169], 4, v[168:169]
	v_add_co_u32 v116, vcc_lo, s8, v96
	v_add_co_ci_u32_e32 v117, vcc_lo, s9, v97, vcc_lo
	v_add_co_u32 v100, s1, s8, v98
	v_add_co_ci_u32_e64 v101, null, s9, 0, s1
	v_add_co_u32 v132, vcc_lo, 0xd60, v116
	v_add_co_ci_u32_e32 v133, vcc_lo, 0, v117, vcc_lo
	v_add_co_u32 v104, vcc_lo, 0xd60, v100
	v_add_co_ci_u32_e32 v105, vcc_lo, 0, v101, vcc_lo
	;; [unrolled: 2-line block ×5, first 2 shown]
	v_add_co_u32 v128, vcc_lo, 0x800, v116
	s_clause 0x4
	global_load_dwordx4 v[96:99], v[132:133], off offset:16
	global_load_dwordx4 v[108:111], v[106:107], off offset:1440
	;; [unrolled: 1-line block ×5, first 2 shown]
	v_add_co_ci_u32_e32 v129, vcc_lo, 0, v117, vcc_lo
	v_lshlrev_b64 v[122:123], 4, v[186:187]
	s_clause 0x3
	global_load_dwordx4 v[136:139], v[106:107], off offset:1376
	global_load_dwordx4 v[124:127], v[104:105], off offset:48
	;; [unrolled: 1-line block ×4, first 2 shown]
	v_mul_lo_u32 v186, s5, v170
	v_mad_u64_u32 v[170:171], null, s4, v170, 0
	s_mov_b32 s12, 0xe976ee23
	v_add_co_u32 v144, vcc_lo, s8, v122
	v_add_co_ci_u32_e32 v145, vcc_lo, s9, v123, vcc_lo
	s_clause 0x1
	global_load_dwordx4 v[120:123], v[120:121], off offset:16
	global_load_dwordx4 v[128:131], v[128:129], off offset:1440
	v_add_co_u32 v160, vcc_lo, 0x800, v144
	v_add_co_ci_u32_e32 v161, vcc_lo, 0, v145, vcc_lo
	v_add_co_u32 v134, vcc_lo, 0xda0, v144
	v_add_co_ci_u32_e32 v135, vcc_lo, 0, v145, vcc_lo
	;; [unrolled: 2-line block ×3, first 2 shown]
	s_clause 0x6
	global_load_dwordx4 v[164:167], v[132:133], off offset:32
	global_load_dwordx4 v[144:147], v[160:161], off offset:1376
	;; [unrolled: 1-line block ×7, first 2 shown]
	v_add3_u32 v171, v171, v190, v186
	v_mul_hi_u32 v186, 0x97b425f, v195
	v_mul_lo_u32 v190, 0xd8, v194
	s_mov_b32 s13, 0x3fe11646
	s_mov_b32 s26, 0x37e14327
	v_lshlrev_b64 v[170:171], 4, v[170:171]
	s_mov_b32 s16, 0x36b3c0b5
	s_mov_b32 s20, 0x429ad128
	;; [unrolled: 1-line block ×3, first 2 shown]
	v_mul_lo_u32 v195, 0xd8, v186
	v_sub_nc_u32_e32 v190, v192, v190
	v_add_co_u32 v170, vcc_lo, s14, v170
	v_add_co_ci_u32_e32 v194, vcc_lo, s15, v171, vcc_lo
	v_mad_u64_u32 v[196:197], null, s2, v190, 0
	v_add_nc_u32_e32 v213, 0xd8, v190
	v_add_nc_u32_e32 v215, 0x1b0, v190
	;; [unrolled: 1-line block ×4, first 2 shown]
	v_add_co_u32 v171, vcc_lo, v170, v168
	v_sub_nc_u32_e32 v168, v191, v195
	v_add_nc_u32_e32 v218, 0x438, v190
	v_add_nc_u32_e32 v219, 0x510, v190
	v_mad_u64_u32 v[198:199], null, s2, v213, 0
	v_mad_u64_u32 v[200:201], null, s2, v215, 0
	;; [unrolled: 1-line block ×4, first 2 shown]
	v_add_co_ci_u32_e32 v194, vcc_lo, v194, v169, vcc_lo
	v_mov_b32_e32 v170, v197
	v_mad_u64_u32 v[168:169], null, 0x5e8, v186, v[168:169]
	v_mad_u64_u32 v[206:207], null, s2, v218, 0
	;; [unrolled: 1-line block ×4, first 2 shown]
	v_mov_b32_e32 v169, v199
	v_mov_b32_e32 v170, v201
	;; [unrolled: 1-line block ×4, first 2 shown]
	v_mad_u64_u32 v[211:212], null, s2, v168, 0
	v_mov_b32_e32 v197, v207
	v_add_nc_u32_e32 v220, 0xd8, v168
	v_mov_b32_e32 v199, v209
	v_mad_u64_u32 v[213:214], null, s3, v213, v[169:170]
	v_mad_u64_u32 v[214:215], null, s3, v215, v[170:171]
	;; [unrolled: 1-line block ×7, first 2 shown]
	v_mov_b32_e32 v197, v210
	v_mov_b32_e32 v210, v212
	;; [unrolled: 1-line block ×6, first 2 shown]
	v_mad_u64_u32 v[212:213], null, s3, v168, v[210:211]
	v_mad_u64_u32 v[213:214], null, s3, v220, v[170:171]
	v_mov_b32_e32 v207, v217
	v_mov_b32_e32 v209, v218
	s_mov_b32 s17, 0x3fac98ee
	s_mov_b32 s21, 0xbfebfeb5
	;; [unrolled: 1-line block ×12, first 2 shown]
	v_lshlrev_b64 v[196:197], 4, v[196:197]
	s_mov_b32 s4, 0x37c3f68c
	s_mov_b32 s5, 0xbfdc38aa
	v_lshlrev_b64 v[198:199], 4, v[198:199]
	v_lshlrev_b64 v[200:201], 4, v[200:201]
	v_lshlrev_b64 v[202:203], 4, v[202:203]
	v_add_co_u32 v196, vcc_lo, v171, v196
	v_add_co_ci_u32_e32 v197, vcc_lo, v194, v197, vcc_lo
	v_add_co_u32 v198, vcc_lo, v171, v198
	v_add_co_ci_u32_e32 v199, vcc_lo, v194, v199, vcc_lo
	v_lshlrev_b64 v[204:205], 4, v[204:205]
	v_add_co_u32 v200, vcc_lo, v171, v200
	v_add_co_ci_u32_e32 v201, vcc_lo, v194, v201, vcc_lo
	v_lshlrev_b64 v[206:207], 4, v[206:207]
	v_add_co_u32 v202, vcc_lo, v171, v202
	v_add_co_ci_u32_e32 v203, vcc_lo, v194, v203, vcc_lo
	v_add_nc_u32_e32 v186, 0x288, v168
	v_lshlrev_b64 v[208:209], 4, v[208:209]
	v_add_co_u32 v204, vcc_lo, v171, v204
	v_add_co_ci_u32_e32 v205, vcc_lo, v194, v205, vcc_lo
	v_add_co_u32 v206, vcc_lo, v171, v206
	v_lshlrev_b64 v[210:211], 4, v[211:212]
	v_add_co_ci_u32_e32 v207, vcc_lo, v194, v207, vcc_lo
	v_add_co_u32 v208, vcc_lo, v171, v208
	v_add_co_ci_u32_e32 v209, vcc_lo, v194, v209, vcc_lo
	v_add_co_u32 v210, vcc_lo, v171, v210
	v_add_co_ci_u32_e32 v211, vcc_lo, v194, v211, vcc_lo
	v_add_nc_u32_e32 v195, 0x1b0, v168
	v_mov_b32_e32 v170, v213
	v_mad_u64_u32 v[190:191], null, s2, v195, 0
	s_waitcnt vmcnt(16) lgkmcnt(7)
	v_mul_f64 v[216:217], v[94:95], v[110:111]
	v_mul_f64 v[110:111], v[58:59], v[110:111]
	s_waitcnt vmcnt(14)
	v_mul_f64 v[214:215], v[90:91], v[142:143]
	v_mul_f64 v[142:143], v[54:55], v[142:143]
	s_waitcnt lgkmcnt(6)
	v_mul_f64 v[218:219], v[76:77], v[114:115]
	v_mul_f64 v[114:115], v[44:45], v[114:115]
	s_waitcnt vmcnt(12)
	v_mul_f64 v[220:221], v[62:63], v[138:139]
	v_mul_f64 v[138:139], v[26:27], v[138:139]
	v_mul_f64 v[222:223], v[64:65], v[102:103]
	v_mul_f64 v[102:103], v[28:29], v[102:103]
	s_waitcnt vmcnt(11)
	v_mul_f64 v[224:225], v[68:69], v[126:127]
	v_mul_f64 v[126:127], v[32:33], v[126:127]
	;; [unrolled: 5-line block ×3, first 2 shown]
	s_waitcnt vmcnt(8) lgkmcnt(0)
	v_mul_f64 v[230:231], v[188:189], v[122:123]
	v_mul_f64 v[122:123], v[180:181], v[122:123]
	;; [unrolled: 1-line block ×4, first 2 shown]
	s_waitcnt vmcnt(7)
	v_mul_f64 v[234:235], v[86:87], v[130:131]
	v_mul_f64 v[130:131], v[38:39], v[130:131]
	v_fma_f64 v[58:59], v[58:59], v[108:109], v[216:217]
	s_waitcnt vmcnt(6)
	v_mul_f64 v[236:237], v[74:75], v[166:167]
	v_mul_f64 v[166:167], v[42:43], v[166:167]
	s_waitcnt vmcnt(5)
	v_mul_f64 v[238:239], v[80:81], v[146:147]
	s_waitcnt vmcnt(4)
	;; [unrolled: 2-line block ×6, first 2 shown]
	v_mul_f64 v[248:249], v[84:85], v[162:163]
	v_mul_f64 v[158:159], v[46:47], v[158:159]
	v_fma_f64 v[54:55], v[54:55], v[140:141], v[214:215]
	v_fma_f64 v[90:91], v[90:91], v[140:141], -v[142:143]
	v_mul_f64 v[140:141], v[48:49], v[146:147]
	v_mul_f64 v[142:143], v[36:37], v[162:163]
	v_fma_f64 v[94:95], v[94:95], v[108:109], -v[110:111]
	v_mul_f64 v[108:109], v[30:31], v[154:155]
	v_mul_f64 v[110:111], v[40:41], v[150:151]
	v_fma_f64 v[44:45], v[44:45], v[112:113], v[218:219]
	v_fma_f64 v[76:77], v[76:77], v[112:113], -v[114:115]
	v_mul_f64 v[112:113], v[34:35], v[134:135]
	v_fma_f64 v[26:27], v[26:27], v[136:137], v[220:221]
	v_fma_f64 v[62:63], v[62:63], v[136:137], -v[138:139]
	v_fma_f64 v[28:29], v[28:29], v[100:101], v[222:223]
	v_fma_f64 v[64:65], v[64:65], v[100:101], -v[102:103]
	;; [unrolled: 2-line block ×9, first 2 shown]
	v_fma_f64 v[48:49], v[48:49], v[144:145], v[238:239]
	v_fma_f64 v[46:47], v[46:47], v[156:157], v[240:241]
	;; [unrolled: 1-line block ×6, first 2 shown]
	v_fma_f64 v[78:79], v[78:79], v[156:157], -v[158:159]
	v_fma_f64 v[80:81], v[80:81], v[144:145], -v[140:141]
	v_fma_f64 v[84:85], v[84:85], v[160:161], -v[142:143]
	v_fma_f64 v[66:67], v[66:67], v[152:153], -v[108:109]
	v_fma_f64 v[72:73], v[72:73], v[148:149], -v[110:111]
	v_fma_f64 v[70:71], v[70:71], v[132:133], -v[112:113]
	v_add_f64 v[100:101], v[26:27], -v[44:45]
	v_add_f64 v[102:103], v[32:33], -v[54:55]
	v_add_f64 v[104:105], v[28:29], -v[58:59]
	v_add_f64 v[106:107], v[62:63], v[76:77]
	v_add_f64 v[108:109], v[64:65], v[94:95]
	v_add_f64 v[26:27], v[26:27], v[44:45]
	v_add_f64 v[28:29], v[28:29], v[58:59]
	v_add_f64 v[110:111], v[68:69], v[90:91]
	v_add_f64 v[32:33], v[32:33], v[54:55]
	v_add_f64 v[44:45], v[62:63], -v[76:77]
	v_add_f64 v[54:55], v[68:69], -v[90:91]
	v_add_f64 v[58:59], v[64:65], -v[94:95]
	v_add_f64 v[62:63], v[50:51], -v[96:97]
	v_add_f64 v[64:65], v[56:57], -v[42:43]
	v_add_f64 v[68:69], v[52:53], -v[38:39]
	v_add_f64 v[76:77], v[82:83], v[98:99]
	v_add_f64 v[90:91], v[88:89], v[86:87]
	v_add_f64 v[94:95], v[92:93], v[74:75]
	v_add_f64 v[50:51], v[50:51], v[96:97]
	v_add_f64 v[38:39], v[52:53], v[38:39]
	v_add_f64 v[42:43], v[56:57], v[42:43]
	v_add_f64 v[52:53], v[82:83], -v[98:99]
	v_add_f64 v[56:57], v[92:93], -v[74:75]
	v_add_f64 v[74:75], v[88:89], -v[86:87]
	;; [unrolled: 12-line block ×3, first 2 shown]
	v_add_f64 v[66:67], v[100:101], -v[102:103]
	v_add_f64 v[70:71], v[102:103], -v[104:105]
	v_add_f64 v[72:73], v[102:103], v[104:105]
	v_add_f64 v[78:79], v[106:107], v[108:109]
	;; [unrolled: 1-line block ×3, first 2 shown]
	v_add_f64 v[80:81], v[106:107], -v[110:111]
	v_add_f64 v[84:85], v[110:111], -v[108:109]
	;; [unrolled: 1-line block ×6, first 2 shown]
	v_add_f64 v[54:55], v[54:55], v[58:59]
	v_add_f64 v[104:105], v[104:105], -v[100:101]
	v_add_f64 v[106:107], v[108:109], -v[106:107]
	;; [unrolled: 1-line block ×6, first 2 shown]
	v_add_f64 v[64:65], v[64:65], v[68:69]
	v_add_f64 v[120:121], v[76:77], v[90:91]
	v_add_f64 v[122:123], v[76:77], -v[94:95]
	v_add_f64 v[124:125], v[94:95], -v[90:91]
	v_add_f64 v[126:127], v[50:51], v[38:39]
	v_add_f64 v[128:129], v[50:51], -v[42:43]
	v_add_f64 v[130:131], v[42:43], -v[38:39]
	;; [unrolled: 1-line block ×4, first 2 shown]
	v_add_f64 v[56:57], v[56:57], v[74:75]
	v_add_f64 v[68:69], v[68:69], -v[62:63]
	v_add_f64 v[76:77], v[90:91], -v[76:77]
	v_add_f64 v[38:39], v[38:39], -v[50:51]
	v_add_f64 v[50:51], v[74:75], -v[52:53]
	v_add_f64 v[74:75], v[82:83], -v[86:87]
	v_add_f64 v[90:91], v[86:87], -v[88:89]
	v_add_f64 v[86:87], v[86:87], v[88:89]
	v_add_f64 v[136:137], v[92:93], v[96:97]
	v_add_f64 v[138:139], v[92:93], -v[98:99]
	v_add_f64 v[140:141], v[98:99], -v[96:97]
	v_add_f64 v[142:143], v[46:47], v[30:31]
	v_add_f64 v[144:145], v[46:47], -v[34:35]
	v_add_f64 v[146:147], v[34:35], -v[30:31]
	;; [unrolled: 1-line block ×4, first 2 shown]
	v_mul_f64 v[30:31], v[70:71], s[12:13]
	v_add_f64 v[70:71], v[100:101], v[72:73]
	v_add_f64 v[72:73], v[110:111], v[78:79]
	;; [unrolled: 1-line block ×3, first 2 shown]
	v_add_f64 v[148:149], v[36:37], -v[40:41]
	v_add_f64 v[150:151], v[40:41], -v[48:49]
	v_add_f64 v[40:41], v[40:41], v[48:49]
	v_add_f64 v[88:89], v[88:89], -v[82:83]
	v_mul_f64 v[78:79], v[80:81], s[26:27]
	v_mul_f64 v[84:85], v[84:85], s[16:17]
	;; [unrolled: 1-line block ×5, first 2 shown]
	v_add_f64 v[44:45], v[44:45], v[54:55]
	v_mul_f64 v[54:55], v[104:105], s[20:21]
	v_mul_f64 v[110:111], v[58:59], s[20:21]
	;; [unrolled: 1-line block ×3, first 2 shown]
	v_add_f64 v[62:63], v[62:63], v[64:65]
	v_add_f64 v[64:65], v[94:95], v[120:121]
	v_mul_f64 v[118:119], v[124:125], s[16:17]
	v_add_f64 v[42:43], v[42:43], v[126:127]
	v_mul_f64 v[120:121], v[128:129], s[26:27]
	v_mul_f64 v[124:125], v[130:131], s[16:17]
	;; [unrolled: 1-line block ×3, first 2 shown]
	v_add_f64 v[52:53], v[52:53], v[56:57]
	v_mul_f64 v[56:57], v[68:69], s[20:21]
	v_mul_f64 v[130:131], v[50:51], s[20:21]
	;; [unrolled: 1-line block ×3, first 2 shown]
	v_add_f64 v[82:83], v[82:83], v[86:87]
	v_add_f64 v[86:87], v[98:99], v[136:137]
	;; [unrolled: 1-line block ×5, first 2 shown]
	v_add_f64 v[48:49], v[48:49], -v[36:37]
	v_mul_f64 v[94:95], v[122:123], s[26:27]
	v_add_f64 v[36:37], v[36:37], v[40:41]
	v_mul_f64 v[40:41], v[88:89], s[20:21]
	v_fma_f64 v[152:153], v[66:67], s[10:11], v[30:31]
	v_fma_f64 v[60:61], v[80:81], s[26:27], v[84:85]
	;; [unrolled: 1-line block ×4, first 2 shown]
	v_fma_f64 v[54:55], v[66:67], s[18:19], -v[54:55]
	v_fma_f64 v[66:67], v[106:107], s[24:25], -v[78:79]
	;; [unrolled: 1-line block ×8, first 2 shown]
	v_fma_f64 v[102:103], v[108:109], s[10:11], v[114:115]
	v_fma_f64 v[106:107], v[122:123], s[26:27], v[118:119]
	v_add_f64 v[28:29], v[178:179], v[42:43]
	v_fma_f64 v[122:123], v[132:133], s[10:11], v[126:127]
	v_fma_f64 v[56:57], v[108:109], s[18:19], -v[56:57]
	v_fma_f64 v[108:109], v[38:39], s[24:25], -v[120:121]
	;; [unrolled: 1-line block ×5, first 2 shown]
	v_fma_f64 v[114:115], v[74:75], s[10:11], v[90:91]
	v_add_f64 v[34:35], v[182:183], v[86:87]
	v_fma_f64 v[88:89], v[88:89], s[20:21], -v[90:91]
	v_fma_f64 v[72:73], v[72:73], s[6:7], v[26:27]
	v_fma_f64 v[90:91], v[96:97], s[6:7], v[24:25]
	v_mul_f64 v[142:143], v[146:147], s[16:17]
	v_mul_f64 v[146:147], v[150:151], s[12:13]
	;; [unrolled: 1-line block ×5, first 2 shown]
	v_add_f64 v[30:31], v[184:185], v[64:65]
	v_add_f64 v[32:33], v[176:177], v[136:137]
	v_mul_f64 v[150:151], v[48:49], s[20:21]
	v_fma_f64 v[116:117], v[128:129], s[26:27], v[124:125]
	v_fma_f64 v[38:39], v[38:39], s[22:23], -v[124:125]
	v_fma_f64 v[40:41], v[74:75], s[18:19], -v[40:41]
	v_fma_f64 v[96:97], v[70:71], s[4:5], v[152:153]
	v_fma_f64 v[112:113], v[44:45], s[4:5], v[112:113]
	;; [unrolled: 1-line block ×6, first 2 shown]
	global_store_dwordx4 v[196:197], v[24:27], off
	v_fma_f64 v[26:27], v[42:43], s[6:7], v[28:29]
	v_fma_f64 v[104:105], v[52:53], s[4:5], v[122:123]
	;; [unrolled: 1-line block ×5, first 2 shown]
	v_add_f64 v[52:53], v[60:61], v[72:73]
	v_add_f64 v[58:59], v[80:81], v[90:91]
	;; [unrolled: 1-line block ×3, first 2 shown]
	v_fma_f64 v[48:49], v[48:49], s[20:21], -v[146:147]
	v_add_f64 v[60:61], v[78:79], v[90:91]
	v_fma_f64 v[94:95], v[76:77], s[24:25], -v[94:95]
	v_fma_f64 v[76:77], v[76:77], s[22:23], -v[118:119]
	v_fma_f64 v[118:119], v[138:139], s[26:27], v[134:135]
	v_fma_f64 v[74:75], v[92:93], s[24:25], -v[98:99]
	v_fma_f64 v[98:99], v[46:47], s[24:25], -v[140:141]
	;; [unrolled: 1-line block ×3, first 2 shown]
	v_fma_f64 v[24:25], v[64:65], s[6:7], v[30:31]
	v_fma_f64 v[102:103], v[62:63], s[4:5], v[102:103]
	;; [unrolled: 1-line block ×5, first 2 shown]
	v_add_f64 v[62:63], v[84:85], v[72:73]
	v_add_f64 v[64:65], v[100:101], v[90:91]
	v_fma_f64 v[92:93], v[92:93], s[22:23], -v[134:135]
	v_fma_f64 v[126:127], v[148:149], s[10:11], v[146:147]
	v_fma_f64 v[128:129], v[148:149], s[18:19], -v[150:151]
	v_fma_f64 v[114:115], v[82:83], s[4:5], v[114:115]
	v_fma_f64 v[100:101], v[82:83], s[4:5], v[40:41]
	;; [unrolled: 1-line block ×3, first 2 shown]
	v_add_f64 v[80:81], v[116:117], v[26:27]
	v_add_f64 v[82:83], v[108:109], v[26:27]
	;; [unrolled: 1-line block ×5, first 2 shown]
	v_add_f64 v[50:51], v[50:51], -v[54:55]
	v_add_f64 v[54:55], v[52:53], -v[96:97]
	v_add_f64 v[52:53], v[112:113], v[58:59]
	v_fma_f64 v[132:133], v[36:37], s[4:5], v[48:49]
	v_add_f64 v[48:49], v[110:111], v[60:61]
	v_add_f64 v[78:79], v[106:107], v[24:25]
	;; [unrolled: 1-line block ×7, first 2 shown]
	v_add_f64 v[44:45], v[64:65], -v[44:45]
	v_fma_f64 v[124:125], v[144:145], s[26:27], v[142:143]
	v_add_f64 v[116:117], v[74:75], v[42:43]
	v_add_f64 v[92:93], v[92:93], v[42:43]
	v_add_f64 v[42:43], v[62:63], -v[70:71]
	v_fma_f64 v[126:127], v[36:37], s[4:5], v[126:127]
	v_fma_f64 v[128:129], v[36:37], s[4:5], v[128:129]
	v_add_f64 v[36:37], v[60:61], -v[110:111]
	v_add_f64 v[72:73], v[94:95], v[24:25]
	v_add_f64 v[76:77], v[76:77], v[24:25]
	v_add_f64 v[24:25], v[58:59], -v[112:113]
	global_store_dwordx4 v[198:199], v[52:55], off
	global_store_dwordx4 v[200:201], v[48:51], off
	;; [unrolled: 1-line block ×3, first 2 shown]
	v_mad_u64_u32 v[44:45], null, s2, v186, 0
	v_add_f64 v[108:109], v[124:125], v[56:57]
	global_store_dwordx4 v[204:205], v[40:43], off
	global_store_dwordx4 v[206:207], v[36:39], off
	;; [unrolled: 1-line block ×4, first 2 shown]
	v_mov_b32_e32 v26, v45
	v_add_nc_u32_e32 v38, 0x360, v168
	v_add_nc_u32_e32 v40, 0x7e, v192
	v_mad_u64_u32 v[46:47], null, s3, v195, v[191:192]
	v_mad_u64_u32 v[26:27], null, s3, v186, v[26:27]
	;; [unrolled: 1-line block ×3, first 2 shown]
	v_lshrrev_b32_e32 v27, 3, v40
	v_add_f64 v[58:59], v[102:103], v[78:79]
	v_add_f64 v[66:67], v[76:77], -v[68:69]
	v_add_f64 v[64:65], v[86:87], v[84:85]
	v_mov_b32_e32 v45, v26
	v_mul_hi_u32 v42, 0x97b425f, v27
	v_mov_b32_e32 v26, v33
	v_add_f64 v[70:71], v[68:69], v[76:77]
	v_add_f64 v[68:69], v[84:85], -v[86:87]
	v_lshlrev_b64 v[36:37], 4, v[44:45]
	v_add_nc_u32_e32 v44, 0x438, v168
	v_add_f64 v[78:79], v[78:79], -v[102:103]
	v_add_f64 v[86:87], v[100:101], v[116:117]
	v_add_f64 v[90:91], v[92:93], -v[130:131]
	v_add_f64 v[88:89], v[132:133], v[98:99]
	v_add_f64 v[94:95], v[130:131], v[92:93]
	v_add_f64 v[92:93], v[98:99], -v[132:133]
	v_add_f64 v[98:99], v[116:117], -v[100:101]
	;; [unrolled: 1-line block ×3, first 2 shown]
	v_add_f64 v[100:101], v[126:127], v[108:109]
	v_mad_u64_u32 v[26:27], null, s3, v38, v[26:27]
	v_add_f64 v[96:97], v[128:129], v[118:119]
	v_mul_lo_u32 v27, 0xd8, v42
	v_mad_u64_u32 v[38:39], null, s2, v44, 0
	v_mov_b32_e32 v191, v46
	v_lshlrev_b64 v[24:25], 4, v[169:170]
	v_add_nc_u32_e32 v45, 0x510, v168
	v_mov_b32_e32 v33, v26
	v_add_f64 v[56:57], v[80:81], -v[104:105]
	v_lshlrev_b64 v[34:35], 4, v[190:191]
	v_sub_nc_u32_e32 v26, v40, v27
	v_mov_b32_e32 v27, v39
	v_add_co_u32 v24, vcc_lo, v171, v24
	v_add_co_ci_u32_e32 v25, vcc_lo, v194, v25, vcc_lo
	v_add_co_u32 v34, vcc_lo, v171, v34
	v_mad_u64_u32 v[40:41], null, s2, v45, 0
	v_mad_u64_u32 v[42:43], null, 0x5e8, v42, v[26:27]
	v_add_co_ci_u32_e32 v35, vcc_lo, v194, v35, vcc_lo
	v_add_co_u32 v36, vcc_lo, v171, v36
	v_mad_u64_u32 v[26:27], null, s3, v44, v[27:28]
	v_add_co_ci_u32_e32 v37, vcc_lo, v194, v37, vcc_lo
	global_store_dwordx4 v[24:25], v[100:103], off
	global_store_dwordx4 v[34:35], v[96:99], off
	;; [unrolled: 1-line block ×3, first 2 shown]
	v_lshlrev_b64 v[24:25], 4, v[32:33]
	v_mov_b32_e32 v27, v41
	v_mad_u64_u32 v[32:33], null, s2, v42, 0
	v_mov_b32_e32 v39, v26
	v_add_f64 v[62:63], v[122:123], v[72:73]
	v_mad_u64_u32 v[26:27], null, s3, v45, v[27:28]
	v_add_f64 v[60:61], v[82:83], -v[120:121]
	v_add_f64 v[74:75], v[72:73], -v[122:123]
	v_mov_b32_e32 v27, v33
	v_lshlrev_b64 v[33:34], 4, v[38:39]
	v_add_nc_u32_e32 v39, 0xd8, v42
	v_add_f64 v[72:73], v[120:121], v[82:83]
	v_mov_b32_e32 v41, v26
	v_mad_u64_u32 v[26:27], null, s3, v42, v[27:28]
	v_mad_u64_u32 v[35:36], null, s2, v39, 0
	v_add_f64 v[76:77], v[104:105], v[80:81]
	v_add_f64 v[82:83], v[114:115], v[106:107]
	v_add_f64 v[80:81], v[108:109], -v[126:127]
	v_add_f64 v[84:85], v[118:119], -v[128:129]
	v_add_co_u32 v24, vcc_lo, v171, v24
	v_add_co_ci_u32_e32 v25, vcc_lo, v194, v25, vcc_lo
	v_add_co_u32 v37, vcc_lo, v171, v33
	v_mov_b32_e32 v33, v26
	v_mov_b32_e32 v26, v36
	global_store_dwordx4 v[24:25], v[88:91], off
	v_lshlrev_b64 v[24:25], 4, v[40:41]
	v_add_co_ci_u32_e32 v38, vcc_lo, v194, v34, vcc_lo
	v_mad_u64_u32 v[26:27], null, s3, v39, v[26:27]
	v_add_nc_u32_e32 v34, 0x1b0, v42
	v_add_co_u32 v24, vcc_lo, v171, v24
	v_lshlrev_b64 v[32:33], 4, v[32:33]
	v_add_co_ci_u32_e32 v25, vcc_lo, v194, v25, vcc_lo
	v_mad_u64_u32 v[39:40], null, s2, v34, 0
	v_mov_b32_e32 v36, v26
	v_add_co_u32 v32, vcc_lo, v171, v32
	global_store_dwordx4 v[37:38], v[84:87], off
	global_store_dwordx4 v[24:25], v[80:83], off
	v_lshlrev_b64 v[25:26], 4, v[35:36]
	v_add_co_ci_u32_e32 v33, vcc_lo, v194, v33, vcc_lo
	v_mov_b32_e32 v24, v40
	v_add_nc_u32_e32 v37, 0x288, v42
	v_add_nc_u32_e32 v36, 0x360, v42
	global_store_dwordx4 v[32:33], v[28:31], off
	v_add_nc_u32_e32 v38, 0x438, v42
	v_mad_u64_u32 v[27:28], null, s3, v34, v[24:25]
	v_add_co_u32 v24, vcc_lo, v171, v25
	v_mad_u64_u32 v[28:29], null, s2, v37, 0
	v_add_co_ci_u32_e32 v25, vcc_lo, v194, v26, vcc_lo
	v_mad_u64_u32 v[30:31], null, s2, v36, 0
	v_mov_b32_e32 v40, v27
	global_store_dwordx4 v[24:25], v[76:79], off
	v_mad_u64_u32 v[25:26], null, s2, v38, 0
	v_mov_b32_e32 v24, v29
	v_lshlrev_b64 v[32:33], 4, v[39:40]
	v_mov_b32_e32 v27, v31
	v_add_nc_u32_e32 v39, 0x510, v42
	v_mad_u64_u32 v[34:35], null, s3, v37, v[24:25]
	v_mad_u64_u32 v[35:36], null, s3, v36, v[27:28]
	;; [unrolled: 1-line block ×3, first 2 shown]
	v_mov_b32_e32 v24, v26
	v_add_co_u32 v26, vcc_lo, v171, v32
	v_add_co_ci_u32_e32 v27, vcc_lo, v194, v33, vcc_lo
	v_mad_u64_u32 v[32:33], null, s3, v38, v[24:25]
	v_mov_b32_e32 v24, v37
	v_mov_b32_e32 v29, v34
	;; [unrolled: 1-line block ×3, first 2 shown]
	global_store_dwordx4 v[26:27], v[72:75], off
	v_mad_u64_u32 v[33:34], null, s3, v39, v[24:25]
	v_lshlrev_b64 v[27:28], 4, v[28:29]
	v_mov_b32_e32 v26, v32
	v_lshlrev_b64 v[29:30], 4, v[30:31]
	v_mov_b32_e32 v37, v33
	v_add_co_u32 v27, vcc_lo, v171, v27
	v_lshlrev_b64 v[24:25], 4, v[25:26]
	v_add_co_ci_u32_e32 v28, vcc_lo, v194, v28, vcc_lo
	v_add_co_u32 v29, vcc_lo, v171, v29
	v_lshlrev_b64 v[31:32], 4, v[36:37]
	v_add_co_ci_u32_e32 v30, vcc_lo, v194, v30, vcc_lo
	v_add_co_u32 v33, vcc_lo, v171, v24
	v_add_nc_u32_e32 v24, 0xbd, v192
	v_add_co_ci_u32_e32 v34, vcc_lo, v194, v25, vcc_lo
	v_add_co_u32 v25, vcc_lo, v171, v31
	v_add_co_ci_u32_e32 v26, vcc_lo, v194, v32, vcc_lo
	v_cmp_gt_u32_e32 vcc_lo, 0xd8, v24
	global_store_dwordx4 v[27:28], v[68:71], off
	global_store_dwordx4 v[29:30], v[64:67], off
	;; [unrolled: 1-line block ×4, first 2 shown]
	s_and_b32 exec_lo, exec_lo, vcc_lo
	s_cbranch_execz .LBB0_20
; %bb.19:
	v_subrev_nc_u32_e32 v25, 27, v192
	v_add_nc_u32_e32 v62, 0x345, v192
	v_add_nc_u32_e32 v67, 0x41d, v192
	v_add_nc_u32_e32 v69, 0x4f5, v192
	v_add_nc_u32_e32 v70, 0x5cd, v192
	v_cndmask_b32_e64 v25, v25, v193, s0
	v_mul_i32_i24_e32 v186, 6, v25
	v_lshlrev_b64 v[25:26], 4, v[186:187]
	v_add_co_u32 v25, vcc_lo, s8, v25
	v_add_co_ci_u32_e32 v26, vcc_lo, s9, v26, vcc_lo
	v_add_co_u32 v45, vcc_lo, 0xd60, v25
	v_add_co_ci_u32_e32 v46, vcc_lo, 0, v26, vcc_lo
	;; [unrolled: 2-line block ×4, first 2 shown]
	s_clause 0x5
	global_load_dwordx4 v[25:28], v[37:38], off offset:1376
	global_load_dwordx4 v[29:32], v[45:46], off offset:16
	;; [unrolled: 1-line block ×6, first 2 shown]
	s_waitcnt vmcnt(5)
	v_mul_f64 v[49:50], v[12:13], v[27:28]
	v_mul_f64 v[27:28], v[0:1], v[27:28]
	s_waitcnt vmcnt(4)
	v_mul_f64 v[51:52], v[14:15], v[31:32]
	v_mul_f64 v[31:32], v[2:3], v[31:32]
	;; [unrolled: 3-line block ×6, first 2 shown]
	v_fma_f64 v[0:1], v[0:1], v[25:26], v[49:50]
	v_fma_f64 v[12:13], v[12:13], v[25:26], -v[27:28]
	v_fma_f64 v[2:3], v[2:3], v[29:30], v[51:52]
	v_fma_f64 v[14:15], v[14:15], v[29:30], -v[31:32]
	;; [unrolled: 2-line block ×6, first 2 shown]
	v_mad_u64_u32 v[25:26], null, s2, v24, 0
	v_add_nc_u32_e32 v58, 0x195, v192
	v_add_nc_u32_e32 v60, 0x26d, v192
	v_mad_u64_u32 v[37:38], null, s2, v67, 0
	v_mad_u64_u32 v[39:40], null, s2, v69, 0
	;; [unrolled: 1-line block ×4, first 2 shown]
	v_add_f64 v[27:28], v[0:1], v[10:11]
	v_add_f64 v[29:30], v[12:13], v[22:23]
	;; [unrolled: 1-line block ×4, first 2 shown]
	v_add_f64 v[2:3], v[2:3], -v[8:9]
	v_add_f64 v[8:9], v[14:15], -v[20:21]
	v_add_f64 v[14:15], v[4:5], v[6:7]
	v_add_f64 v[20:21], v[16:17], v[18:19]
	v_add_f64 v[4:5], v[6:7], -v[4:5]
	v_add_f64 v[6:7], v[18:19], -v[16:17]
	;; [unrolled: 1-line block ×4, first 2 shown]
	v_mad_u64_u32 v[16:17], null, s2, v60, 0
	v_mad_u64_u32 v[18:19], null, s2, v62, 0
	;; [unrolled: 1-line block ×3, first 2 shown]
	v_add_f64 v[0:1], v[31:32], v[27:28]
	v_add_f64 v[22:23], v[33:34], v[29:30]
	v_mov_b32_e32 v24, v36
	v_mov_b32_e32 v26, v38
	v_add_f64 v[44:45], v[27:28], -v[14:15]
	v_add_f64 v[46:47], v[29:30], -v[20:21]
	;; [unrolled: 1-line block ×6, first 2 shown]
	v_mad_u64_u32 v[58:59], null, s3, v58, v[24:25]
	v_mad_u64_u32 v[59:60], null, s3, v60, v[17:18]
	v_add_f64 v[60:61], v[4:5], v[2:3]
	v_add_f64 v[8:9], v[6:7], v[8:9]
	v_add_f64 v[4:5], v[10:11], -v[4:5]
	v_add_f64 v[6:7], v[12:13], -v[6:7]
	;; [unrolled: 1-line block ×4, first 2 shown]
	v_mov_b32_e32 v36, v40
	v_mov_b32_e32 v38, v42
	v_add_f64 v[56:57], v[14:15], v[0:1]
	v_add_f64 v[22:23], v[20:21], v[22:23]
	v_add_f64 v[20:21], v[20:21], -v[33:34]
	v_add_f64 v[14:15], v[14:15], -v[31:32]
	v_mul_f64 v[44:45], v[44:45], s[26:27]
	v_mul_f64 v[46:47], v[46:47], s[26:27]
	;; [unrolled: 1-line block ×5, first 2 shown]
	v_mov_b32_e32 v17, v59
	v_add_f64 v[10:11], v[60:61], v[10:11]
	v_add_f64 v[8:9], v[8:9], v[12:13]
	v_lshlrev_b64 v[16:17], 4, v[16:17]
	v_mad_u64_u32 v[67:68], null, s3, v67, v[26:27]
	v_mov_b32_e32 v26, v43
	v_mad_u64_u32 v[68:69], null, s3, v69, v[36:37]
	v_add_f64 v[0:1], v[172:173], v[56:57]
	v_mad_u64_u32 v[62:63], null, s3, v62, v[19:20]
	v_add_f64 v[2:3], v[174:175], v[22:23]
	v_mul_f64 v[63:64], v[54:55], s[20:21]
	v_mul_f64 v[33:34], v[14:15], s[16:17]
	;; [unrolled: 1-line block ×3, first 2 shown]
	v_fma_f64 v[12:13], v[14:15], s[16:17], v[44:45]
	v_fma_f64 v[14:15], v[20:21], s[16:17], v[46:47]
	;; [unrolled: 1-line block ×4, first 2 shown]
	v_fma_f64 v[4:5], v[4:5], s[18:19], -v[31:32]
	v_fma_f64 v[48:49], v[52:53], s[20:21], -v[48:49]
	;; [unrolled: 1-line block ×5, first 2 shown]
	v_mov_b32_e32 v36, v58
	v_lshlrev_b64 v[24:25], 4, v[25:26]
	v_mad_u64_u32 v[69:70], null, s3, v70, v[38:39]
	v_mov_b32_e32 v38, v67
	v_mov_b32_e32 v40, v68
	v_fma_f64 v[31:32], v[56:57], s[6:7], v[0:1]
	v_mov_b32_e32 v19, v62
	v_fma_f64 v[22:23], v[22:23], s[6:7], v[2:3]
	v_fma_f64 v[6:7], v[6:7], s[18:19], -v[63:64]
	v_fma_f64 v[27:28], v[27:28], s[22:23], -v[33:34]
	v_fma_f64 v[29:30], v[29:30], s[22:23], -v[65:66]
	v_lshlrev_b64 v[33:34], 4, v[35:36]
	v_mov_b32_e32 v42, v69
	v_fma_f64 v[35:36], v[10:11], s[4:5], v[20:21]
	v_fma_f64 v[52:53], v[8:9], s[4:5], v[60:61]
	;; [unrolled: 1-line block ×5, first 2 shown]
	v_add_f64 v[56:57], v[12:13], v[31:32]
	v_add_f64 v[43:44], v[43:44], v[31:32]
	;; [unrolled: 1-line block ×3, first 2 shown]
	v_fma_f64 v[54:55], v[8:9], s[4:5], v[6:7]
	v_add_f64 v[45:46], v[45:46], v[22:23]
	v_add_f64 v[26:27], v[27:28], v[31:32]
	;; [unrolled: 1-line block ×3, first 2 shown]
	v_lshlrev_b64 v[30:31], 4, v[37:38]
	v_lshlrev_b64 v[37:38], 4, v[39:40]
	;; [unrolled: 1-line block ×3, first 2 shown]
	v_add_co_u32 v41, vcc_lo, v171, v24
	v_add_co_ci_u32_e32 v42, vcc_lo, v194, v25, vcc_lo
	v_add_co_u32 v32, vcc_lo, v171, v33
	v_add_co_ci_u32_e32 v33, vcc_lo, v194, v34, vcc_lo
	v_add_co_u32 v60, vcc_lo, v171, v16
	v_lshlrev_b64 v[28:29], 4, v[18:19]
	v_add_f64 v[4:5], v[52:53], v[56:57]
	v_add_co_ci_u32_e32 v61, vcc_lo, v194, v17, vcc_lo
	v_add_f64 v[6:7], v[58:59], -v[35:36]
	v_add_f64 v[8:9], v[54:55], v[43:44]
	v_add_f64 v[10:11], v[45:46], -v[49:50]
	v_add_f64 v[12:13], v[26:27], -v[47:48]
	v_add_f64 v[14:15], v[20:21], v[22:23]
	v_add_f64 v[16:17], v[47:48], v[26:27]
	v_add_f64 v[18:19], v[22:23], -v[20:21]
	v_add_f64 v[20:21], v[43:44], -v[54:55]
	v_add_f64 v[22:23], v[49:50], v[45:46]
	v_add_f64 v[24:25], v[56:57], -v[52:53]
	v_add_f64 v[26:27], v[35:36], v[58:59]
	v_add_co_u32 v28, vcc_lo, v171, v28
	v_add_co_ci_u32_e32 v29, vcc_lo, v194, v29, vcc_lo
	v_add_co_u32 v30, vcc_lo, v171, v30
	v_add_co_ci_u32_e32 v31, vcc_lo, v194, v31, vcc_lo
	;; [unrolled: 2-line block ×4, first 2 shown]
	global_store_dwordx4 v[41:42], v[0:3], off
	global_store_dwordx4 v[32:33], v[4:7], off
	;; [unrolled: 1-line block ×7, first 2 shown]
.LBB0_20:
	s_endpgm
	.section	.rodata,"a",@progbits
	.p2align	6, 0x0
	.amdhsa_kernel fft_rtc_back_len1512_factors_2_2_2_3_3_3_7_wgs_63_tpt_63_halfLds_dp_op_CI_CI_sbrr_dirReg
		.amdhsa_group_segment_fixed_size 0
		.amdhsa_private_segment_fixed_size 0
		.amdhsa_kernarg_size 104
		.amdhsa_user_sgpr_count 6
		.amdhsa_user_sgpr_private_segment_buffer 1
		.amdhsa_user_sgpr_dispatch_ptr 0
		.amdhsa_user_sgpr_queue_ptr 0
		.amdhsa_user_sgpr_kernarg_segment_ptr 1
		.amdhsa_user_sgpr_dispatch_id 0
		.amdhsa_user_sgpr_flat_scratch_init 0
		.amdhsa_user_sgpr_private_segment_size 0
		.amdhsa_wavefront_size32 1
		.amdhsa_uses_dynamic_stack 0
		.amdhsa_system_sgpr_private_segment_wavefront_offset 0
		.amdhsa_system_sgpr_workgroup_id_x 1
		.amdhsa_system_sgpr_workgroup_id_y 0
		.amdhsa_system_sgpr_workgroup_id_z 0
		.amdhsa_system_sgpr_workgroup_info 0
		.amdhsa_system_vgpr_workitem_id 0
		.amdhsa_next_free_vgpr 250
		.amdhsa_next_free_sgpr 31
		.amdhsa_reserve_vcc 1
		.amdhsa_reserve_flat_scratch 0
		.amdhsa_float_round_mode_32 0
		.amdhsa_float_round_mode_16_64 0
		.amdhsa_float_denorm_mode_32 3
		.amdhsa_float_denorm_mode_16_64 3
		.amdhsa_dx10_clamp 1
		.amdhsa_ieee_mode 1
		.amdhsa_fp16_overflow 0
		.amdhsa_workgroup_processor_mode 1
		.amdhsa_memory_ordered 1
		.amdhsa_forward_progress 0
		.amdhsa_shared_vgpr_count 0
		.amdhsa_exception_fp_ieee_invalid_op 0
		.amdhsa_exception_fp_denorm_src 0
		.amdhsa_exception_fp_ieee_div_zero 0
		.amdhsa_exception_fp_ieee_overflow 0
		.amdhsa_exception_fp_ieee_underflow 0
		.amdhsa_exception_fp_ieee_inexact 0
		.amdhsa_exception_int_div_zero 0
	.end_amdhsa_kernel
	.text
.Lfunc_end0:
	.size	fft_rtc_back_len1512_factors_2_2_2_3_3_3_7_wgs_63_tpt_63_halfLds_dp_op_CI_CI_sbrr_dirReg, .Lfunc_end0-fft_rtc_back_len1512_factors_2_2_2_3_3_3_7_wgs_63_tpt_63_halfLds_dp_op_CI_CI_sbrr_dirReg
                                        ; -- End function
	.section	.AMDGPU.csdata,"",@progbits
; Kernel info:
; codeLenInByte = 21384
; NumSgprs: 33
; NumVgprs: 250
; ScratchSize: 0
; MemoryBound: 1
; FloatMode: 240
; IeeeMode: 1
; LDSByteSize: 0 bytes/workgroup (compile time only)
; SGPRBlocks: 4
; VGPRBlocks: 31
; NumSGPRsForWavesPerEU: 33
; NumVGPRsForWavesPerEU: 250
; Occupancy: 4
; WaveLimiterHint : 1
; COMPUTE_PGM_RSRC2:SCRATCH_EN: 0
; COMPUTE_PGM_RSRC2:USER_SGPR: 6
; COMPUTE_PGM_RSRC2:TRAP_HANDLER: 0
; COMPUTE_PGM_RSRC2:TGID_X_EN: 1
; COMPUTE_PGM_RSRC2:TGID_Y_EN: 0
; COMPUTE_PGM_RSRC2:TGID_Z_EN: 0
; COMPUTE_PGM_RSRC2:TIDIG_COMP_CNT: 0
	.text
	.p2alignl 6, 3214868480
	.fill 48, 4, 3214868480
	.type	__hip_cuid_9e9698842de6e228,@object ; @__hip_cuid_9e9698842de6e228
	.section	.bss,"aw",@nobits
	.globl	__hip_cuid_9e9698842de6e228
__hip_cuid_9e9698842de6e228:
	.byte	0                               ; 0x0
	.size	__hip_cuid_9e9698842de6e228, 1

	.ident	"AMD clang version 19.0.0git (https://github.com/RadeonOpenCompute/llvm-project roc-6.4.0 25133 c7fe45cf4b819c5991fe208aaa96edf142730f1d)"
	.section	".note.GNU-stack","",@progbits
	.addrsig
	.addrsig_sym __hip_cuid_9e9698842de6e228
	.amdgpu_metadata
---
amdhsa.kernels:
  - .args:
      - .actual_access:  read_only
        .address_space:  global
        .offset:         0
        .size:           8
        .value_kind:     global_buffer
      - .offset:         8
        .size:           8
        .value_kind:     by_value
      - .actual_access:  read_only
        .address_space:  global
        .offset:         16
        .size:           8
        .value_kind:     global_buffer
      - .actual_access:  read_only
        .address_space:  global
        .offset:         24
        .size:           8
        .value_kind:     global_buffer
      - .actual_access:  read_only
        .address_space:  global
        .offset:         32
        .size:           8
        .value_kind:     global_buffer
      - .offset:         40
        .size:           8
        .value_kind:     by_value
      - .actual_access:  read_only
        .address_space:  global
        .offset:         48
        .size:           8
        .value_kind:     global_buffer
      - .actual_access:  read_only
        .address_space:  global
        .offset:         56
        .size:           8
        .value_kind:     global_buffer
      - .offset:         64
        .size:           4
        .value_kind:     by_value
      - .actual_access:  read_only
        .address_space:  global
        .offset:         72
        .size:           8
        .value_kind:     global_buffer
      - .actual_access:  read_only
        .address_space:  global
        .offset:         80
        .size:           8
        .value_kind:     global_buffer
      - .actual_access:  read_only
        .address_space:  global
        .offset:         88
        .size:           8
        .value_kind:     global_buffer
      - .actual_access:  write_only
        .address_space:  global
        .offset:         96
        .size:           8
        .value_kind:     global_buffer
    .group_segment_fixed_size: 0
    .kernarg_segment_align: 8
    .kernarg_segment_size: 104
    .language:       OpenCL C
    .language_version:
      - 2
      - 0
    .max_flat_workgroup_size: 63
    .name:           fft_rtc_back_len1512_factors_2_2_2_3_3_3_7_wgs_63_tpt_63_halfLds_dp_op_CI_CI_sbrr_dirReg
    .private_segment_fixed_size: 0
    .sgpr_count:     33
    .sgpr_spill_count: 0
    .symbol:         fft_rtc_back_len1512_factors_2_2_2_3_3_3_7_wgs_63_tpt_63_halfLds_dp_op_CI_CI_sbrr_dirReg.kd
    .uniform_work_group_size: 1
    .uses_dynamic_stack: false
    .vgpr_count:     250
    .vgpr_spill_count: 0
    .wavefront_size: 32
    .workgroup_processor_mode: 1
amdhsa.target:   amdgcn-amd-amdhsa--gfx1030
amdhsa.version:
  - 1
  - 2
...

	.end_amdgpu_metadata
